;; amdgpu-corpus repo=ROCm/rocFFT kind=compiled arch=gfx1100 opt=O3
	.text
	.amdgcn_target "amdgcn-amd-amdhsa--gfx1100"
	.amdhsa_code_object_version 6
	.protected	bluestein_single_back_len864_dim1_dp_op_CI_CI ; -- Begin function bluestein_single_back_len864_dim1_dp_op_CI_CI
	.globl	bluestein_single_back_len864_dim1_dp_op_CI_CI
	.p2align	8
	.type	bluestein_single_back_len864_dim1_dp_op_CI_CI,@function
bluestein_single_back_len864_dim1_dp_op_CI_CI: ; @bluestein_single_back_len864_dim1_dp_op_CI_CI
; %bb.0:
	s_load_b128 s[8:11], s[0:1], 0x28
	v_mul_u32_u24_e32 v1, 0x4be, v0
	s_mov_b32 s2, exec_lo
	v_mov_b32_e32 v8, 0
	s_delay_alu instid0(VALU_DEP_2) | instskip(NEXT) | instid1(VALU_DEP_1)
	v_lshrrev_b32_e32 v1, 16, v1
	v_add_nc_u32_e32 v7, s15, v1
	s_waitcnt lgkmcnt(0)
	s_delay_alu instid0(VALU_DEP_1)
	v_cmpx_gt_u64_e64 s[8:9], v[7:8]
	s_cbranch_execz .LBB0_31
; %bb.1:
	s_clause 0x1
	s_load_b128 s[4:7], s[0:1], 0x18
	s_load_b64 s[16:17], s[0:1], 0x0
	v_mul_lo_u16 v1, v1, 54
	s_delay_alu instid0(VALU_DEP_1) | instskip(NEXT) | instid1(VALU_DEP_1)
	v_sub_nc_u16 v2, v0, v1
	v_and_b32_e32 v8, 0xffff, v2
	s_delay_alu instid0(VALU_DEP_1)
	v_lshlrev_b32_e32 v44, 4, v8
	s_waitcnt lgkmcnt(0)
	s_load_b128 s[12:15], s[4:5], 0x0
	s_clause 0x4
	global_load_b128 v[126:129], v44, s[16:17]
	global_load_b128 v[130:133], v44, s[16:17] offset:864
	global_load_b128 v[134:137], v44, s[16:17] offset:1728
	;; [unrolled: 1-line block ×4, first 2 shown]
	v_add_co_u32 v5, s2, s16, v44
	s_delay_alu instid0(VALU_DEP_1) | instskip(NEXT) | instid1(VALU_DEP_2)
	v_add_co_ci_u32_e64 v6, null, s17, 0, s2
	v_add_co_u32 v54, vcc_lo, 0x1000, v5
	s_delay_alu instid0(VALU_DEP_2)
	v_add_co_ci_u32_e32 v55, vcc_lo, 0, v6, vcc_lo
	v_add_co_u32 v10, vcc_lo, 0x2000, v5
	v_add_co_ci_u32_e32 v11, vcc_lo, 0, v6, vcc_lo
	v_add_co_u32 v52, vcc_lo, 0x3000, v5
	v_mov_b32_e32 v5, v7
	v_or_b32_e32 v9, 0x240, v8
	s_waitcnt lgkmcnt(0)
	v_mad_u64_u32 v[3:4], null, s12, v8, 0
	v_add_co_ci_u32_e32 v53, vcc_lo, 0, v6, vcc_lo
	s_delay_alu instid0(VALU_DEP_3)
	v_lshlrev_b32_e32 v0, 4, v9
	s_mul_i32 s3, s13, 0x120
	s_mul_hi_u32 s4, s12, 0x120
	s_mul_i32 s2, s12, 0x120
	s_add_i32 s3, s4, s3
	scratch_store_b32 off, v0, off offset:372 ; 4-byte Folded Spill
	global_load_b128 v[158:161], v0, s[16:17]
	v_mad_u64_u32 v[0:1], null, s14, v7, 0
	s_clause 0x1
	global_load_b128 v[182:185], v[54:55], off offset:512
	global_load_b128 v[170:173], v[54:55], off offset:1376
	scratch_store_b64 off, v[5:6], off offset:4 ; 8-byte Folded Spill
	s_clause 0x2
	global_load_b128 v[166:169], v[10:11], off offset:1888
	global_load_b128 v[154:157], v[54:55], off offset:2240
	;; [unrolled: 1-line block ×3, first 2 shown]
	s_clause 0x1
	scratch_store_b32 off, v8, off
	scratch_store_b32 off, v9, off offset:12
	s_mul_i32 s4, s13, 0xfffff160
	v_mad_u64_u32 v[5:6], null, s15, v7, v[1:2]
	s_sub_i32 s4, s4, s12
	scratch_store_b64 off, v[10:11], off offset:64 ; 8-byte Folded Spill
	s_clause 0x1
	global_load_b128 v[162:165], v[10:11], off offset:2752
	global_load_b128 v[150:153], v[10:11], off offset:3616
	s_mul_hi_u32 s5, s12, 0xfffffdf6
	v_mad_u64_u32 v[6:7], null, s13, v8, v[4:5]
	v_mov_b32_e32 v1, v5
	v_mad_u64_u32 v[7:8], null, s12, v9, 0
	s_sub_i32 s5, s5, s12
	s_delay_alu instid0(VALU_DEP_2) | instskip(NEXT) | instid1(VALU_DEP_2)
	v_lshlrev_b64 v[0:1], 4, v[0:1]
	v_dual_mov_b32 v4, v6 :: v_dual_mov_b32 v5, v8
	s_delay_alu instid0(VALU_DEP_1) | instskip(NEXT) | instid1(VALU_DEP_3)
	v_lshlrev_b64 v[3:4], 4, v[3:4]
	v_add_co_u32 v6, vcc_lo, s10, v0
	s_delay_alu instid0(VALU_DEP_4) | instskip(SKIP_1) | instid1(VALU_DEP_2)
	v_add_co_ci_u32_e32 v13, vcc_lo, s11, v1, vcc_lo
	s_lshl_b64 s[10:11], s[2:3], 4
	v_mad_u64_u32 v[0:1], null, s13, v9, v[5:6]
	s_delay_alu instid0(VALU_DEP_4) | instskip(NEXT) | instid1(VALU_DEP_3)
	v_add_co_u32 v9, vcc_lo, v6, v3
	v_add_co_ci_u32_e32 v10, vcc_lo, v13, v4, vcc_lo
	s_mul_i32 s3, s13, 0xfffffdf6
	s_delay_alu instid0(VALU_DEP_2) | instskip(NEXT) | instid1(VALU_DEP_2)
	v_add_co_u32 v11, vcc_lo, v9, s10
	v_add_co_ci_u32_e32 v12, vcc_lo, s11, v10, vcc_lo
	v_mov_b32_e32 v8, v0
	s_mul_i32 s2, s12, 0xfffffdf6
	s_add_i32 s3, s5, s3
	s_delay_alu instid0(VALU_DEP_2) | instskip(NEXT) | instid1(VALU_DEP_2)
	v_mad_u64_u32 v[0:1], null, 0xfffff160, s12, v[11:12]
	v_lshlrev_b64 v[3:4], 4, v[7:8]
	s_lshl_b64 s[2:3], s[2:3], 4
	s_delay_alu instid0(VALU_DEP_2) | instskip(NEXT) | instid1(VALU_DEP_2)
	v_add_nc_u32_e32 v1, s4, v1
	v_add_co_u32 v3, vcc_lo, v6, v3
	s_delay_alu instid0(VALU_DEP_3) | instskip(SKIP_1) | instid1(VALU_DEP_4)
	v_add_co_ci_u32_e32 v4, vcc_lo, v13, v4, vcc_lo
	v_add_co_u32 v19, vcc_lo, v0, s10
	v_add_co_ci_u32_e32 v20, vcc_lo, s11, v1, vcc_lo
	global_load_b128 v[3:6], v[3:4], off
	v_add_co_u32 v23, vcc_lo, v19, s10
	v_add_co_ci_u32_e32 v24, vcc_lo, s11, v20, vcc_lo
	s_clause 0x1
	global_load_b128 v[7:10], v[9:10], off
	global_load_b128 v[11:14], v[11:12], off
	v_add_co_u32 v27, vcc_lo, v23, s2
	v_add_co_ci_u32_e32 v28, vcc_lo, s3, v24, vcc_lo
	global_load_b128 v[15:18], v[0:1], off
	v_add_co_u32 v0, vcc_lo, v27, s10
	v_add_co_ci_u32_e32 v1, vcc_lo, s11, v28, vcc_lo
	s_clause 0x1
	global_load_b128 v[19:22], v[19:20], off
	global_load_b128 v[23:26], v[23:24], off
	v_add_co_u32 v35, vcc_lo, v0, s10
	v_add_co_ci_u32_e32 v36, vcc_lo, s11, v1, vcc_lo
	global_load_b128 v[31:34], v[0:1], off
	v_add_co_u32 v39, vcc_lo, v35, s2
	v_add_co_ci_u32_e32 v40, vcc_lo, s3, v36, vcc_lo
	scratch_store_b64 off, v[54:55], off offset:80 ; 8-byte Folded Spill
	v_add_co_u32 v0, vcc_lo, v39, s10
	v_add_co_ci_u32_e32 v1, vcc_lo, s11, v40, vcc_lo
	global_load_b128 v[46:49], v[39:40], off
	v_add_co_u32 v41, vcc_lo, v0, s10
	v_add_co_ci_u32_e32 v42, vcc_lo, s11, v1, vcc_lo
	global_load_b128 v[60:63], v[0:1], off
	;; [unrolled: 3-line block ×5, first 2 shown]
	global_load_b128 v[64:67], v[41:42], off
	global_load_b128 v[174:177], v[54:55], off offset:3968
	global_load_b128 v[72:75], v[50:51], off
	scratch_store_b64 off, v[52:53], off offset:72 ; 8-byte Folded Spill
	global_load_b128 v[178:181], v[52:53], off offset:384
	global_load_b128 v[76:79], v[0:1], off
	v_cmp_gt_u16_e32 vcc_lo, 18, v2
	s_waitcnt vmcnt(29)
	scratch_store_b128 off, v[126:129], off offset:16 ; 16-byte Folded Spill
	s_waitcnt vmcnt(28)
	scratch_store_b128 off, v[130:133], off offset:32 ; 16-byte Folded Spill
	s_waitcnt vmcnt(27)
	scratch_store_b128 off, v[134:137], off offset:48 ; 16-byte Folded Spill
	s_waitcnt vmcnt(26)
	scratch_store_b128 off, v[138:141], off offset:88 ; 16-byte Folded Spill
	s_waitcnt vmcnt(25)
	scratch_store_b128 off, v[142:145], off offset:104 ; 16-byte Folded Spill
	s_waitcnt vmcnt(24)
	scratch_store_b128 off, v[158:161], off offset:168 ; 16-byte Folded Spill
	s_waitcnt vmcnt(23)
	scratch_store_b128 off, v[182:185], off offset:264 ; 16-byte Folded Spill
	s_waitcnt vmcnt(22)
	scratch_store_b128 off, v[170:173], off offset:216 ; 16-byte Folded Spill
	s_waitcnt vmcnt(21)
	scratch_store_b128 off, v[166:169], off offset:200 ; 16-byte Folded Spill
	s_waitcnt vmcnt(20)
	scratch_store_b128 off, v[154:157], off offset:152 ; 16-byte Folded Spill
	s_waitcnt vmcnt(19)
	scratch_store_b128 off, v[146:149], off offset:120 ; 16-byte Folded Spill
	s_waitcnt vmcnt(18)
	scratch_store_b128 off, v[162:165], off offset:184 ; 16-byte Folded Spill
	s_waitcnt vmcnt(17)
	scratch_store_b128 off, v[150:153], off offset:136 ; 16-byte Folded Spill
	s_waitcnt vmcnt(16)
	v_mul_f64 v[50:51], v[5:6], v[160:161]
	v_mul_f64 v[52:53], v[3:4], v[160:161]
	s_waitcnt vmcnt(15)
	v_mul_f64 v[39:40], v[9:10], v[128:129]
	v_mul_f64 v[41:42], v[7:8], v[128:129]
	;; [unrolled: 3-line block ×4, first 2 shown]
	s_waitcnt vmcnt(12)
	v_mul_f64 v[82:83], v[21:22], v[172:173]
	s_waitcnt vmcnt(11)
	v_mul_f64 v[86:87], v[25:26], v[168:169]
	v_mul_f64 v[88:89], v[23:24], v[168:169]
	;; [unrolled: 1-line block ×3, first 2 shown]
	s_waitcnt vmcnt(10)
	v_mul_f64 v[94:95], v[33:34], v[156:157]
	v_mul_f64 v[96:97], v[31:32], v[156:157]
	s_waitcnt vmcnt(9)
	v_mul_f64 v[102:103], v[48:49], v[140:141]
	v_mul_f64 v[104:105], v[46:47], v[140:141]
	s_waitcnt vmcnt(8)
	v_mul_f64 v[106:107], v[62:63], v[148:149]
	v_mul_f64 v[108:109], v[60:61], v[148:149]
	v_fma_f64 v[3:4], v[3:4], v[158:159], v[50:51]
	v_fma_f64 v[5:6], v[5:6], v[158:159], -v[52:53]
	s_waitcnt vmcnt(7)
	v_mul_f64 v[90:91], v[29:30], v[136:137]
	v_mul_f64 v[92:93], v[27:28], v[136:137]
	v_fma_f64 v[7:8], v[7:8], v[126:127], v[39:40]
	v_fma_f64 v[9:10], v[9:10], v[126:127], -v[41:42]
	v_fma_f64 v[11:12], v[11:12], v[182:183], v[54:55]
	s_waitcnt vmcnt(6)
	v_mul_f64 v[114:115], v[70:71], v[144:145]
	v_mul_f64 v[116:117], v[68:69], v[144:145]
	v_fma_f64 v[13:14], v[13:14], v[182:183], -v[56:57]
	v_fma_f64 v[15:16], v[15:16], v[130:131], v[58:59]
	v_fma_f64 v[17:18], v[17:18], v[130:131], -v[80:81]
	s_waitcnt vmcnt(5)
	v_mul_f64 v[98:99], v[37:38], v[164:165]
	v_mul_f64 v[100:101], v[35:36], v[164:165]
	s_waitcnt vmcnt(2)
	v_mul_f64 v[118:119], v[74:75], v[176:177]
	v_mul_f64 v[120:121], v[72:73], v[176:177]
	;; [unrolled: 3-line block ×3, first 2 shown]
	v_mul_f64 v[110:111], v[66:67], v[152:153]
	v_mul_f64 v[112:113], v[64:65], v[152:153]
	v_fma_f64 v[23:24], v[23:24], v[166:167], v[86:87]
	v_fma_f64 v[25:26], v[25:26], v[166:167], -v[88:89]
	v_fma_f64 v[19:20], v[19:20], v[170:171], v[82:83]
	v_fma_f64 v[21:22], v[21:22], v[170:171], -v[84:85]
	;; [unrolled: 2-line block ×3, first 2 shown]
	s_clause 0x1
	scratch_store_b128 off, v[174:177], off offset:232
	scratch_store_b128 off, v[178:181], off offset:248
	s_load_b64 s[8:9], s[0:1], 0x38
	s_load_b128 s[4:7], s[6:7], 0x0
	v_fma_f64 v[46:47], v[46:47], v[138:139], v[102:103]
	v_fma_f64 v[48:49], v[48:49], v[138:139], -v[104:105]
	v_fma_f64 v[60:61], v[60:61], v[146:147], v[106:107]
	v_fma_f64 v[62:63], v[62:63], v[146:147], -v[108:109]
	;; [unrolled: 2-line block ×8, first 2 shown]
	ds_store_b128 v44, v[7:10]
	ds_store_b128 v44, v[15:18] offset:864
	ds_store_b128 v44, v[3:6] offset:9216
	;; [unrolled: 1-line block ×14, first 2 shown]
	s_and_saveexec_b32 s12, vcc_lo
	s_cbranch_execz .LBB0_3
; %bb.2:
	scratch_load_b64 v[4:5], off, off offset:80 ; 8-byte Folded Reload
	v_add_co_u32 v0, s2, v0, s2
	s_delay_alu instid0(VALU_DEP_1) | instskip(NEXT) | instid1(VALU_DEP_2)
	v_add_co_ci_u32_e64 v1, s2, s3, v1, s2
	v_add_co_u32 v8, s2, v0, s10
	s_delay_alu instid0(VALU_DEP_1) | instskip(SKIP_2) | instid1(VALU_DEP_1)
	v_add_co_ci_u32_e64 v9, s2, s11, v1, s2
	global_load_b128 v[0:3], v[0:1], off
	v_add_co_u32 v20, s2, v8, s10
	v_add_co_ci_u32_e64 v21, s2, s11, v9, s2
	s_waitcnt vmcnt(1)
	global_load_b128 v[4:7], v[4:5], off offset:224
	global_load_b128 v[8:11], v[8:9], off
	scratch_load_b64 v[12:13], off, off offset:64 ; 8-byte Folded Reload
	s_waitcnt vmcnt(0)
	global_load_b128 v[12:15], v[12:13], off offset:736
	scratch_load_b64 v[16:17], off, off offset:72 ; 8-byte Folded Reload
	v_mul_f64 v[24:25], v[2:3], v[6:7]
	v_mul_f64 v[6:7], v[0:1], v[6:7]
	s_waitcnt vmcnt(0)
	global_load_b128 v[16:19], v[16:17], off offset:1248
	global_load_b128 v[20:23], v[20:21], off
	v_mul_f64 v[26:27], v[10:11], v[14:15]
	v_mul_f64 v[14:15], v[8:9], v[14:15]
	v_fma_f64 v[0:1], v[0:1], v[4:5], v[24:25]
	v_fma_f64 v[2:3], v[2:3], v[4:5], -v[6:7]
	s_delay_alu instid0(VALU_DEP_4) | instskip(NEXT) | instid1(VALU_DEP_4)
	v_fma_f64 v[4:5], v[8:9], v[12:13], v[26:27]
	v_fma_f64 v[6:7], v[10:11], v[12:13], -v[14:15]
	s_waitcnt vmcnt(0)
	v_mul_f64 v[28:29], v[22:23], v[18:19]
	v_mul_f64 v[18:19], v[20:21], v[18:19]
	s_delay_alu instid0(VALU_DEP_2) | instskip(NEXT) | instid1(VALU_DEP_2)
	v_fma_f64 v[8:9], v[20:21], v[16:17], v[28:29]
	v_fma_f64 v[10:11], v[22:23], v[16:17], -v[18:19]
	ds_store_b128 v44, v[0:3] offset:4320
	ds_store_b128 v44, v[4:7] offset:8928
	;; [unrolled: 1-line block ×3, first 2 shown]
.LBB0_3:
	s_or_b32 exec_lo, exec_lo, s12
	s_waitcnt lgkmcnt(0)
	s_waitcnt_vscnt null, 0x0
	s_barrier
	buffer_gl0_inv
	ds_load_b128 v[24:27], v44
	ds_load_b128 v[20:23], v44 offset:864
	ds_load_b128 v[0:3], v44 offset:9216
	;; [unrolled: 1-line block ×14, first 2 shown]
                                        ; implicit-def: $vgpr64_vgpr65
                                        ; implicit-def: $vgpr84_vgpr85
                                        ; implicit-def: $vgpr80_vgpr81
	s_and_saveexec_b32 s2, vcc_lo
	s_cbranch_execz .LBB0_5
; %bb.4:
	ds_load_b128 v[64:67], v44 offset:4320
	ds_load_b128 v[84:87], v44 offset:8928
	;; [unrolled: 1-line block ×3, first 2 shown]
.LBB0_5:
	s_or_b32 exec_lo, exec_lo, s2
	scratch_load_b32 v43, off, off          ; 4-byte Folded Reload
	s_waitcnt lgkmcnt(4)
	v_add_f64 v[46:47], v[88:89], v[0:1]
	v_add_f64 v[48:49], v[90:91], v[2:3]
	;; [unrolled: 1-line block ×6, first 2 shown]
	s_waitcnt lgkmcnt(2)
	v_add_f64 v[58:59], v[76:77], v[12:13]
	v_add_f64 v[92:93], v[78:79], v[14:15]
	s_waitcnt lgkmcnt(0)
	v_add_f64 v[94:95], v[72:73], v[16:17]
	v_add_f64 v[96:97], v[74:75], v[18:19]
	;; [unrolled: 1-line block ×5, first 2 shown]
	v_add_f64 v[104:105], v[90:91], -v[2:3]
	v_add_f64 v[90:91], v[26:27], v[90:91]
	v_add_f64 v[118:119], v[32:33], v[72:73]
	;; [unrolled: 1-line block ×11, first 2 shown]
	v_add_f64 v[68:69], v[68:69], -v[4:5]
	v_add_f64 v[62:63], v[62:63], -v[10:11]
	;; [unrolled: 1-line block ×5, first 2 shown]
	s_mov_b32 s11, 0xbfebb67a
	s_waitcnt vmcnt(0)
	s_barrier
	buffer_gl0_inv
	v_fma_f64 v[24:25], v[46:47], -0.5, v[24:25]
	v_add_f64 v[46:47], v[88:89], -v[0:1]
	v_fma_f64 v[26:27], v[48:49], -0.5, v[26:27]
	v_add_f64 v[48:49], v[70:71], -v[6:7]
	v_fma_f64 v[50:51], v[50:51], -0.5, v[20:21]
	v_fma_f64 v[52:53], v[52:53], -0.5, v[22:23]
	;; [unrolled: 1-line block ×3, first 2 shown]
	v_add_f64 v[54:55], v[60:61], -v[8:9]
	v_fma_f64 v[38:39], v[56:57], -0.5, v[38:39]
	v_add_f64 v[56:57], v[78:79], -v[14:15]
	v_fma_f64 v[58:59], v[58:59], -0.5, v[28:29]
	v_add_f64 v[70:71], v[76:77], -v[12:13]
	v_fma_f64 v[78:79], v[92:93], -0.5, v[30:31]
	v_fma_f64 v[88:89], v[94:95], -0.5, v[32:33]
	v_add_f64 v[92:93], v[72:73], -v[16:17]
	v_fma_f64 v[94:95], v[96:97], -0.5, v[34:35]
	v_fma_f64 v[126:127], v[98:99], -0.5, v[64:65]
	;; [unrolled: 1-line block ×3, first 2 shown]
	v_add_f64 v[0:1], v[102:103], v[0:1]
	v_add_f64 v[2:3], v[90:91], v[2:3]
	;; [unrolled: 1-line block ×12, first 2 shown]
	v_add_co_u32 v41, s2, v43, 54
	s_delay_alu instid0(VALU_DEP_1)
	v_add_co_ci_u32_e64 v40, null, 0, 0, s2
	s_mov_b32 s2, 0xe8584caa
	s_mov_b32 s3, 0x3febb67a
	;; [unrolled: 1-line block ×3, first 2 shown]
	v_fma_f64 v[16:17], v[104:105], s[2:3], v[24:25]
	v_fma_f64 v[18:19], v[46:47], s[10:11], v[26:27]
	;; [unrolled: 1-line block ×24, first 2 shown]
	v_mul_lo_u16 v40, v43, 3
	v_add_co_u32 v42, null, 0x6c, v43
	v_add_co_u32 v39, null, 0xa2, v43
	s_delay_alu instid0(VALU_DEP_3) | instskip(SKIP_2) | instid1(VALU_DEP_3)
	v_and_b32_e32 v40, 0xffff, v40
	v_add_co_u32 v38, null, 0xd8, v43
	v_add_co_u32 v36, s2, 0x10e, v43
	v_lshlrev_b32_e32 v50, 4, v40
	v_mul_u32_u24_e32 v43, 3, v41
	v_mul_u32_u24_e32 v45, 3, v42
	ds_store_b128 v50, v[0:3]
	ds_store_b128 v50, v[16:19] offset:16
	v_mul_u32_u24_e32 v0, 3, v39
	v_mul_u32_u24_e32 v1, 3, v38
	v_add_co_ci_u32_e64 v37, null, 0, 0, s2
	v_lshlrev_b32_e32 v43, 4, v43
	v_lshlrev_b32_e32 v40, 4, v45
	;; [unrolled: 1-line block ×4, first 2 shown]
	v_mul_u32_u24_e32 v1, 3, v36
	scratch_store_b32 off, v50, off offset:300 ; 4-byte Folded Spill
	ds_store_b128 v50, v[20:23] offset:32
	ds_store_b128 v43, v[4:7]
	ds_store_b128 v43, v[24:27] offset:16
	scratch_store_b32 off, v43, off offset:296 ; 4-byte Folded Spill
	ds_store_b128 v43, v[28:31] offset:32
	ds_store_b128 v40, v[8:11]
	ds_store_b128 v40, v[32:35] offset:16
	;; [unrolled: 4-line block ×3, first 2 shown]
	s_clause 0x1
	scratch_store_b32 off, v1, off offset:380
	scratch_store_b32 off, v2, off offset:292
	ds_store_b128 v2, v[76:79] offset:32
	ds_store_b128 v0, v[64:67]
	ds_store_b128 v0, v[72:75] offset:16
	scratch_store_b32 off, v0, off offset:288 ; 4-byte Folded Spill
	ds_store_b128 v0, v[68:71] offset:32
	s_and_saveexec_b32 s2, vcc_lo
	s_cbranch_execz .LBB0_7
; %bb.6:
	v_mul_u32_u24_e32 v0, 3, v36
	s_delay_alu instid0(VALU_DEP_1)
	v_lshlrev_b32_e32 v0, 4, v0
	ds_store_b128 v0, v[96:99]
	ds_store_b128 v0, v[120:123] offset:16
	ds_store_b128 v0, v[100:103] offset:32
.LBB0_7:
	s_or_b32 exec_lo, exec_lo, s2
	s_waitcnt lgkmcnt(0)
	s_waitcnt_vscnt null, 0x0
	s_barrier
	buffer_gl0_inv
	ds_load_b128 v[140:143], v44
	ds_load_b128 v[136:139], v44 offset:864
	ds_load_b128 v[164:167], v44 offset:2304
	;; [unrolled: 1-line block ×11, first 2 shown]
	scratch_load_b32 v4, off, off           ; 4-byte Folded Reload
	s_load_b64 s[2:3], s[0:1], 0x8
	s_waitcnt vmcnt(0)
	v_cmp_gt_u16_e64 s0, 36, v4
	s_delay_alu instid0(VALU_DEP_1)
	s_and_saveexec_b32 s1, s0
	s_cbranch_execz .LBB0_9
; %bb.8:
	ds_load_b128 v[64:67], v44 offset:1728
	ds_load_b128 v[72:75], v44 offset:4032
	ds_load_b128 v[68:71], v44 offset:6336
	ds_load_b128 v[96:99], v44 offset:8640
	ds_load_b128 v[120:123], v44 offset:10944
	ds_load_b128 v[100:103], v44 offset:13248
.LBB0_9:
	s_or_b32 exec_lo, exec_lo, s1
	scratch_load_b32 v5, off, off           ; 4-byte Folded Reload
	s_mov_b32 s12, 0xe8584caa
	s_mov_b32 s13, 0x3febb67a
	;; [unrolled: 1-line block ×3, first 2 shown]
	s_waitcnt vmcnt(0)
	v_and_b32_e32 v43, 0xff, v5
	s_delay_alu instid0(VALU_DEP_1) | instskip(NEXT) | instid1(VALU_DEP_1)
	v_mul_lo_u16 v4, 0xab, v43
	v_lshrrev_b16 v20, 9, v4
	s_delay_alu instid0(VALU_DEP_1) | instskip(SKIP_1) | instid1(VALU_DEP_2)
	v_mul_lo_u16 v4, v20, 3
	v_and_b32_e32 v20, 0xffff, v20
	v_sub_nc_u16 v4, v5, v4
	s_delay_alu instid0(VALU_DEP_2) | instskip(NEXT) | instid1(VALU_DEP_2)
	v_mul_u32_u24_e32 v20, 18, v20
	v_and_b32_e32 v21, 0xff, v4
	s_waitcnt lgkmcnt(0)
	s_delay_alu instid0(VALU_DEP_1)
	v_mad_u64_u32 v[8:9], null, 0x50, v21, s[2:3]
	s_clause 0x1
	global_load_b128 v[10:13], v[8:9], off offset:32
	global_load_b128 v[80:83], v[8:9], off offset:48
	s_waitcnt vmcnt(1)
	v_mul_f64 v[4:5], v[78:79], v[12:13]
	scratch_store_b128 off, v[10:13], off offset:304 ; 16-byte Folded Spill
	v_fma_f64 v[34:35], v[76:77], v[10:11], -v[4:5]
	v_mul_f64 v[4:5], v[76:77], v[12:13]
	s_delay_alu instid0(VALU_DEP_1) | instskip(SKIP_1) | instid1(VALU_DEP_1)
	v_fma_f64 v[46:47], v[78:79], v[10:11], v[4:5]
	v_and_b32_e32 v4, 0xff, v41
	v_mul_lo_u16 v4, 0xab, v4
	s_delay_alu instid0(VALU_DEP_1) | instskip(NEXT) | instid1(VALU_DEP_1)
	v_lshrrev_b16 v40, 9, v4
	v_mul_lo_u16 v4, v40, 3
	s_delay_alu instid0(VALU_DEP_1) | instskip(NEXT) | instid1(VALU_DEP_1)
	v_sub_nc_u16 v4, v41, v4
	v_and_b32_e32 v45, 0xff, v4
	s_delay_alu instid0(VALU_DEP_1)
	v_mad_u64_u32 v[4:5], null, 0x50, v45, s[2:3]
	s_clause 0x1
	global_load_b128 v[132:135], v[8:9], off offset:64
	global_load_b128 v[76:79], v[4:5], off
	s_waitcnt vmcnt(1)
	v_mul_f64 v[6:7], v[84:85], v[134:135]
	s_delay_alu instid0(VALU_DEP_1) | instskip(SKIP_1) | instid1(VALU_DEP_1)
	v_fma_f64 v[52:53], v[86:87], v[132:133], v[6:7]
	v_mul_f64 v[6:7], v[86:87], v[134:135]
	v_fma_f64 v[54:55], v[84:85], v[132:133], -v[6:7]
	s_clause 0x1
	global_load_b128 v[124:127], v[4:5], off offset:32
	global_load_b128 v[84:87], v[4:5], off offset:16
	s_waitcnt vmcnt(1)
	v_mul_f64 v[6:7], v[90:91], v[126:127]
	s_delay_alu instid0(VALU_DEP_1) | instskip(SKIP_1) | instid1(VALU_DEP_1)
	v_fma_f64 v[56:57], v[88:89], v[124:125], -v[6:7]
	v_mul_f64 v[6:7], v[88:89], v[126:127]
	v_fma_f64 v[58:59], v[90:91], v[124:125], v[6:7]
	s_clause 0x1
	global_load_b128 v[128:131], v[4:5], off offset:64
	global_load_b128 v[88:91], v[4:5], off offset:48
	s_waitcnt vmcnt(1)
	v_mul_f64 v[4:5], v[0:1], v[130:131]
	s_delay_alu instid0(VALU_DEP_1) | instskip(SKIP_1) | instid1(VALU_DEP_1)
	v_fma_f64 v[168:169], v[2:3], v[128:129], v[4:5]
	v_mul_f64 v[2:3], v[2:3], v[130:131]
	v_fma_f64 v[170:171], v[0:1], v[128:129], -v[2:3]
	v_and_b32_e32 v0, 0xff, v42
	s_delay_alu instid0(VALU_DEP_1) | instskip(NEXT) | instid1(VALU_DEP_1)
	v_mul_lo_u16 v0, 0xab, v0
	v_lshrrev_b16 v60, 9, v0
	s_delay_alu instid0(VALU_DEP_1) | instskip(NEXT) | instid1(VALU_DEP_1)
	v_mul_lo_u16 v0, v60, 3
	v_sub_nc_u16 v0, v42, v0
	s_delay_alu instid0(VALU_DEP_1) | instskip(NEXT) | instid1(VALU_DEP_1)
	v_and_b32_e32 v0, 0xff, v0
	v_mad_u64_u32 v[10:11], null, 0x50, v0, s[2:3]
	scratch_store_b32 off, v0, off offset:280 ; 4-byte Folded Spill
	s_clause 0x4
	global_load_b128 v[112:115], v[10:11], off offset:32
	global_load_b128 v[92:95], v[10:11], off offset:48
	;; [unrolled: 1-line block ×3, first 2 shown]
	global_load_b128 v[104:107], v[8:9], off
	global_load_b128 v[108:111], v[8:9], off offset:16
	s_waitcnt vmcnt(4)
	v_mul_f64 v[2:3], v[96:97], v[114:115]
	v_mul_f64 v[0:1], v[98:99], v[114:115]
	s_waitcnt vmcnt(1)
	v_mul_f64 v[8:9], v[166:167], v[106:107]
	s_waitcnt vmcnt(0)
	v_mul_f64 v[12:13], v[154:155], v[110:111]
	v_mul_f64 v[16:17], v[120:121], v[94:95]
	v_fma_f64 v[6:7], v[98:99], v[112:113], v[2:3]
	v_mul_f64 v[2:3], v[100:101], v[118:119]
	v_fma_f64 v[0:1], v[96:97], v[112:113], -v[0:1]
	v_fma_f64 v[172:173], v[164:165], v[104:105], -v[8:9]
	v_mul_f64 v[8:9], v[164:165], v[106:107]
	v_fma_f64 v[16:17], v[122:123], v[92:93], v[16:17]
	v_fma_f64 v[4:5], v[102:103], v[116:117], v[2:3]
	v_mul_f64 v[2:3], v[102:103], v[118:119]
	s_delay_alu instid0(VALU_DEP_4) | instskip(SKIP_1) | instid1(VALU_DEP_3)
	v_fma_f64 v[164:165], v[166:167], v[104:105], v[8:9]
	v_mul_f64 v[8:9], v[162:163], v[78:79]
	v_fma_f64 v[2:3], v[100:101], v[116:117], -v[2:3]
	s_clause 0x1
	global_load_b128 v[96:99], v[10:11], off
	global_load_b128 v[100:103], v[10:11], off offset:16
	s_waitcnt vmcnt(0)
	s_waitcnt_vscnt null, 0x0
	v_fma_f64 v[166:167], v[160:161], v[76:77], -v[8:9]
	v_mul_f64 v[8:9], v[160:161], v[78:79]
	s_barrier
	buffer_gl0_inv
	v_fma_f64 v[160:161], v[162:163], v[76:77], v[8:9]
	v_mul_f64 v[8:9], v[74:75], v[98:99]
	v_mul_f64 v[10:11], v[72:73], v[98:99]
	s_delay_alu instid0(VALU_DEP_2) | instskip(SKIP_2) | instid1(VALU_DEP_4)
	v_fma_f64 v[8:9], v[72:73], v[96:97], -v[8:9]
	v_fma_f64 v[72:73], v[152:153], v[108:109], -v[12:13]
	v_mul_f64 v[12:13], v[152:153], v[110:111]
	v_fma_f64 v[10:11], v[74:75], v[96:97], v[10:11]
	s_delay_alu instid0(VALU_DEP_2) | instskip(SKIP_1) | instid1(VALU_DEP_2)
	v_fma_f64 v[74:75], v[154:155], v[108:109], v[12:13]
	v_mul_f64 v[12:13], v[158:159], v[82:83]
	v_add_f64 v[24:25], v[142:143], v[74:75]
	s_delay_alu instid0(VALU_DEP_2) | instskip(SKIP_1) | instid1(VALU_DEP_2)
	v_fma_f64 v[152:153], v[156:157], v[80:81], -v[12:13]
	v_mul_f64 v[12:13], v[156:157], v[82:83]
	v_add_f64 v[22:23], v[72:73], v[152:153]
	s_delay_alu instid0(VALU_DEP_2) | instskip(SKIP_1) | instid1(VALU_DEP_2)
	v_fma_f64 v[154:155], v[158:159], v[80:81], v[12:13]
	v_mul_f64 v[12:13], v[146:147], v[86:87]
	v_add_f64 v[28:29], v[24:25], v[154:155]
	s_delay_alu instid0(VALU_DEP_2) | instskip(SKIP_1) | instid1(VALU_DEP_1)
	v_fma_f64 v[156:157], v[144:145], v[84:85], -v[12:13]
	v_mul_f64 v[12:13], v[144:145], v[86:87]
	v_fma_f64 v[144:145], v[146:147], v[84:85], v[12:13]
	v_mul_f64 v[12:13], v[150:151], v[90:91]
	s_delay_alu instid0(VALU_DEP_1) | instskip(SKIP_1) | instid1(VALU_DEP_1)
	v_fma_f64 v[146:147], v[148:149], v[88:89], -v[12:13]
	v_mul_f64 v[12:13], v[148:149], v[90:91]
	v_fma_f64 v[148:149], v[150:151], v[88:89], v[12:13]
	v_mul_f64 v[12:13], v[70:71], v[102:103]
	s_delay_alu instid0(VALU_DEP_1) | instskip(SKIP_1) | instid1(VALU_DEP_1)
	v_fma_f64 v[14:15], v[68:69], v[100:101], -v[12:13]
	v_mul_f64 v[12:13], v[68:69], v[102:103]
	v_fma_f64 v[18:19], v[70:71], v[100:101], v[12:13]
	v_mul_f64 v[12:13], v[122:123], v[94:95]
	s_delay_alu instid0(VALU_DEP_1) | instskip(SKIP_2) | instid1(VALU_DEP_1)
	v_fma_f64 v[12:13], v[120:121], v[92:93], -v[12:13]
	v_fma_f64 v[120:121], v[22:23], -0.5, v[140:141]
	v_add_f64 v[22:23], v[74:75], v[154:155]
	v_fma_f64 v[122:123], v[22:23], -0.5, v[142:143]
	v_add_f64 v[22:23], v[140:141], v[72:73]
	s_delay_alu instid0(VALU_DEP_1) | instskip(SKIP_1) | instid1(VALU_DEP_1)
	v_add_f64 v[26:27], v[22:23], v[152:153]
	v_add_f64 v[22:23], v[172:173], v[34:35]
	;; [unrolled: 1-line block ×4, first 2 shown]
	s_delay_alu instid0(VALU_DEP_1) | instskip(NEXT) | instid1(VALU_DEP_3)
	v_add_f64 v[32:33], v[22:23], v[52:53]
	v_add_f64 v[22:23], v[26:27], v[30:31]
	v_add_f64 v[26:27], v[26:27], -v[30:31]
	v_add_f64 v[30:31], v[156:157], v[146:147]
	s_delay_alu instid0(VALU_DEP_4) | instskip(SKIP_2) | instid1(VALU_DEP_4)
	v_add_f64 v[24:25], v[28:29], v[32:33]
	v_add_f64 v[28:29], v[28:29], -v[32:33]
	v_add_f64 v[32:33], v[138:139], v[144:145]
	v_fma_f64 v[150:151], v[30:31], -0.5, v[136:137]
	v_add_f64 v[30:31], v[144:145], v[148:149]
	s_delay_alu instid0(VALU_DEP_3) | instskip(NEXT) | instid1(VALU_DEP_2)
	v_add_f64 v[50:51], v[32:33], v[148:149]
	v_fma_f64 v[158:159], v[30:31], -0.5, v[138:139]
	v_add_f64 v[30:31], v[136:137], v[156:157]
	v_add_f64 v[136:137], v[72:73], -v[152:153]
	s_delay_alu instid0(VALU_DEP_2) | instskip(SKIP_1) | instid1(VALU_DEP_3)
	v_add_f64 v[48:49], v[30:31], v[146:147]
	v_add_f64 v[30:31], v[166:167], v[56:57]
	v_fma_f64 v[142:143], v[136:137], s[10:11], v[122:123]
	s_delay_alu instid0(VALU_DEP_2) | instskip(SKIP_1) | instid1(VALU_DEP_1)
	v_add_f64 v[68:69], v[30:31], v[170:171]
	v_add_f64 v[30:31], v[160:161], v[58:59]
	;; [unrolled: 1-line block ×3, first 2 shown]
	s_delay_alu instid0(VALU_DEP_3)
	v_add_f64 v[30:31], v[48:49], v[68:69]
	v_add_f64 v[48:49], v[48:49], -v[68:69]
	v_add_f64 v[68:69], v[34:35], v[54:55]
	v_add_f64 v[34:35], v[34:35], -v[54:55]
	;; [unrolled: 2-line block ×3, first 2 shown]
	v_add_f64 v[52:53], v[74:75], -v[154:155]
	v_add_f64 v[32:33], v[50:51], v[70:71]
	v_add_f64 v[50:51], v[50:51], -v[70:71]
	v_fma_f64 v[138:139], v[68:69], -0.5, v[172:173]
	v_fma_f64 v[54:55], v[54:55], -0.5, v[164:165]
	v_fma_f64 v[140:141], v[52:53], s[12:13], v[120:121]
	v_fma_f64 v[52:53], v[52:53], s[10:11], v[120:121]
	s_delay_alu instid0(VALU_DEP_4) | instskip(SKIP_4) | instid1(VALU_DEP_4)
	v_fma_f64 v[70:71], v[46:47], s[12:13], v[138:139]
	v_fma_f64 v[46:47], v[46:47], s[10:11], v[138:139]
	;; [unrolled: 1-line block ×5, first 2 shown]
	v_mul_f64 v[120:121], v[46:47], -0.5
	s_delay_alu instid0(VALU_DEP_4) | instskip(NEXT) | instid1(VALU_DEP_2)
	v_mul_f64 v[72:73], v[68:69], s[12:13]
	v_fma_f64 v[136:137], v[34:35], s[12:13], v[120:121]
	v_mul_f64 v[34:35], v[34:35], -0.5
	s_delay_alu instid0(VALU_DEP_3) | instskip(SKIP_1) | instid1(VALU_DEP_4)
	v_fma_f64 v[72:73], v[70:71], 0.5, v[72:73]
	v_mul_f64 v[70:71], v[70:71], s[10:11]
	v_add_f64 v[120:121], v[52:53], v[136:137]
	s_delay_alu instid0(VALU_DEP_4)
	v_fma_f64 v[34:35], v[46:47], s[10:11], v[34:35]
	v_add_f64 v[136:137], v[52:53], -v[136:137]
	v_add_f64 v[52:53], v[58:59], v[168:169]
	v_fma_f64 v[74:75], v[68:69], 0.5, v[70:71]
	v_add_f64 v[46:47], v[56:57], -v[170:171]
	v_add_f64 v[68:69], v[140:141], v[72:73]
	v_add_f64 v[72:73], v[140:141], -v[72:73]
	v_add_f64 v[122:123], v[54:55], v[34:35]
	;; [unrolled: 2-line block ×3, first 2 shown]
	v_fma_f64 v[52:53], v[52:53], -0.5, v[160:161]
	v_add_f64 v[54:55], v[58:59], -v[168:169]
	v_add_f64 v[70:71], v[142:143], v[74:75]
	v_add_f64 v[74:75], v[142:143], -v[74:75]
	v_add_f64 v[56:57], v[144:145], -v[148:149]
	;; [unrolled: 1-line block ×3, first 2 shown]
	v_fma_f64 v[34:35], v[34:35], -0.5, v[166:167]
	v_fma_f64 v[140:141], v[46:47], s[10:11], v[52:53]
	v_fma_f64 v[46:47], v[46:47], s[12:13], v[52:53]
	v_fma_f64 v[148:149], v[56:57], s[12:13], v[150:151]
	v_fma_f64 v[52:53], v[56:57], s[10:11], v[150:151]
	v_fma_f64 v[152:153], v[58:59], s[10:11], v[158:159]
	v_fma_f64 v[142:143], v[54:55], s[12:13], v[34:35]
	v_fma_f64 v[34:35], v[54:55], s[10:11], v[34:35]
	v_mul_f64 v[144:145], v[140:141], s[12:13]
	v_fma_f64 v[54:55], v[58:59], s[12:13], v[158:159]
	s_delay_alu instid0(VALU_DEP_3) | instskip(NEXT) | instid1(VALU_DEP_3)
	v_mul_f64 v[56:57], v[34:35], -0.5
	v_fma_f64 v[144:145], v[142:143], 0.5, v[144:145]
	v_mul_f64 v[142:143], v[142:143], s[10:11]
	s_delay_alu instid0(VALU_DEP_3) | instskip(SKIP_1) | instid1(VALU_DEP_3)
	v_fma_f64 v[56:57], v[46:47], s[12:13], v[56:57]
	v_mul_f64 v[46:47], v[46:47], -0.5
	v_fma_f64 v[146:147], v[140:141], 0.5, v[142:143]
	v_add_f64 v[140:141], v[148:149], v[144:145]
	v_add_f64 v[144:145], v[148:149], -v[144:145]
	v_add_f64 v[148:149], v[52:53], v[56:57]
	v_fma_f64 v[34:35], v[34:35], s[10:11], v[46:47]
	v_add_f64 v[142:143], v[152:153], v[146:147]
	v_add_f64 v[146:147], v[152:153], -v[146:147]
	v_add_f64 v[152:153], v[52:53], -v[56:57]
	v_add_lshl_u32 v47, v20, v21, 4
	v_and_b32_e32 v20, 0xffff, v40
	ds_store_b128 v47, v[22:25]
	ds_store_b128 v47, v[68:71] offset:48
	ds_store_b128 v47, v[26:29] offset:144
	;; [unrolled: 1-line block ×5, first 2 shown]
	v_mul_u32_u24_e32 v20, 18, v20
	v_and_b32_e32 v40, 0xffff, v60
	v_add_f64 v[22:23], v[6:7], -v[4:5]
	v_add_f64 v[24:25], v[18:19], -v[16:17]
	s_delay_alu instid0(VALU_DEP_4)
	v_add_lshl_u32 v20, v20, v45, 4
	v_add_f64 v[154:155], v[54:55], -v[34:35]
	v_add_f64 v[150:151], v[54:55], v[34:35]
	ds_store_b128 v20, v[30:33]
	ds_store_b128 v20, v[140:143] offset:48
	ds_store_b128 v20, v[148:151] offset:96
	;; [unrolled: 1-line block ×4, first 2 shown]
	s_clause 0x1
	scratch_store_b32 off, v20, off offset:376
	scratch_store_b32 off, v40, off offset:368
	ds_store_b128 v20, v[152:155] offset:240
	v_add_f64 v[20:21], v[0:1], v[2:3]
	v_add_f64 v[30:31], v[14:15], -v[12:13]
	s_delay_alu instid0(VALU_DEP_2) | instskip(NEXT) | instid1(VALU_DEP_1)
	v_fma_f64 v[20:21], v[20:21], -0.5, v[8:9]
	v_fma_f64 v[34:35], v[22:23], s[10:11], v[20:21]
	v_fma_f64 v[28:29], v[22:23], s[12:13], v[20:21]
	v_add_f64 v[20:21], v[6:7], v[4:5]
	v_add_f64 v[22:23], v[0:1], -v[2:3]
	s_delay_alu instid0(VALU_DEP_2) | instskip(NEXT) | instid1(VALU_DEP_1)
	v_fma_f64 v[20:21], v[20:21], -0.5, v[10:11]
	v_fma_f64 v[32:33], v[22:23], s[10:11], v[20:21]
	v_fma_f64 v[48:49], v[22:23], s[12:13], v[20:21]
	v_add_f64 v[20:21], v[14:15], v[12:13]
	s_delay_alu instid0(VALU_DEP_1) | instskip(NEXT) | instid1(VALU_DEP_1)
	v_fma_f64 v[22:23], v[20:21], -0.5, v[64:65]
	v_fma_f64 v[20:21], v[24:25], s[12:13], v[22:23]
	v_fma_f64 v[24:25], v[24:25], s[10:11], v[22:23]
	v_add_f64 v[22:23], v[18:19], v[16:17]
	s_delay_alu instid0(VALU_DEP_1) | instskip(NEXT) | instid1(VALU_DEP_1)
	v_fma_f64 v[22:23], v[22:23], -0.5, v[66:67]
	v_fma_f64 v[26:27], v[30:31], s[10:11], v[22:23]
	v_fma_f64 v[30:31], v[30:31], s[12:13], v[22:23]
	v_mul_f64 v[22:23], v[32:33], s[12:13]
	s_delay_alu instid0(VALU_DEP_1) | instskip(SKIP_1) | instid1(VALU_DEP_2)
	v_fma_f64 v[22:23], v[28:29], 0.5, v[22:23]
	v_mul_f64 v[28:29], v[28:29], s[10:11]
	v_add_f64 v[228:229], v[20:21], -v[22:23]
	s_delay_alu instid0(VALU_DEP_2) | instskip(SKIP_1) | instid1(VALU_DEP_2)
	v_fma_f64 v[32:33], v[32:33], 0.5, v[28:29]
	v_mul_f64 v[28:29], v[34:35], -0.5
	v_add_f64 v[230:231], v[26:27], -v[32:33]
	s_delay_alu instid0(VALU_DEP_2) | instskip(SKIP_1) | instid1(VALU_DEP_2)
	v_fma_f64 v[28:29], v[48:49], s[12:13], v[28:29]
	v_mul_f64 v[48:49], v[48:49], -0.5
	v_add_f64 v[232:233], v[24:25], -v[28:29]
	s_delay_alu instid0(VALU_DEP_2) | instskip(NEXT) | instid1(VALU_DEP_1)
	v_fma_f64 v[34:35], v[34:35], s[10:11], v[48:49]
	v_add_f64 v[234:235], v[30:31], -v[34:35]
	s_and_saveexec_b32 s1, s0
	s_cbranch_execz .LBB0_11
; %bb.10:
	v_add_f64 v[18:19], v[66:67], v[18:19]
	v_add_f64 v[6:7], v[10:11], v[6:7]
	;; [unrolled: 1-line block ×4, first 2 shown]
	s_delay_alu instid0(VALU_DEP_4) | instskip(NEXT) | instid1(VALU_DEP_4)
	v_add_f64 v[14:15], v[18:19], v[16:17]
	v_add_f64 v[16:17], v[6:7], v[4:5]
	s_delay_alu instid0(VALU_DEP_4) | instskip(NEXT) | instid1(VALU_DEP_4)
	v_add_f64 v[12:13], v[10:11], v[12:13]
	v_add_f64 v[18:19], v[0:1], v[2:3]
	;; [unrolled: 1-line block ×7, first 2 shown]
	v_add_f64 v[14:15], v[14:15], -v[16:17]
	s_clause 0x1
	scratch_load_b32 v16, off, off offset:368
	scratch_load_b32 v17, off, off offset:280
	v_add_f64 v[8:9], v[12:13], v[18:19]
	v_add_f64 v[12:13], v[12:13], -v[18:19]
	s_waitcnt vmcnt(1)
	v_mul_u32_u24_e32 v16, 18, v16
	s_waitcnt vmcnt(0)
	s_delay_alu instid0(VALU_DEP_1)
	v_add_lshl_u32 v16, v16, v17, 4
	ds_store_b128 v16, v[8:11]
	ds_store_b128 v16, v[4:7] offset:48
	ds_store_b128 v16, v[0:3] offset:96
	;; [unrolled: 1-line block ×5, first 2 shown]
.LBB0_11:
	s_or_b32 exec_lo, exec_lo, s1
	scratch_load_b32 v1, off, off           ; 4-byte Folded Reload
	v_mul_lo_u16 v0, v43, 57
	s_waitcnt vmcnt(0) lgkmcnt(0)
	s_waitcnt_vscnt null, 0x0
	s_barrier
	buffer_gl0_inv
	s_mov_b32 s10, 0x667f3bcd
	v_lshrrev_b16 v4, 10, v0
	s_mov_b32 s11, 0xbfe6a09e
	s_mov_b32 s13, 0x3fe6a09e
	;; [unrolled: 1-line block ×4, first 2 shown]
	v_mul_lo_u16 v0, v4, 18
	s_mov_b32 s15, 0xbfed906b
	s_mov_b32 s23, 0x3fed906b
	;; [unrolled: 1-line block ×7, first 2 shown]
	v_and_b32_e32 v4, 0xffff, v4
	s_delay_alu instid0(VALU_DEP_1) | instskip(SKIP_1) | instid1(VALU_DEP_1)
	v_mul_u32_u24_e32 v4, 0x120, v4
	v_sub_nc_u16 v0, v1, v0
	v_and_b32_e32 v5, 0xff, v0
	s_delay_alu instid0(VALU_DEP_1) | instskip(NEXT) | instid1(VALU_DEP_4)
	v_mad_u64_u32 v[26:27], null, 0xf0, v5, s[2:3]
	v_or_b32_e32 v4, v4, v5
	s_clause 0x3
	global_load_b128 v[30:33], v[26:27], off offset:240
	global_load_b128 v[54:57], v[26:27], off offset:256
	;; [unrolled: 1-line block ×4, first 2 shown]
	ds_load_b128 v[0:3], v44 offset:864
	ds_load_b128 v[6:9], v44
	ds_load_b128 v[10:13], v44 offset:1728
	ds_load_b128 v[14:17], v44 offset:2592
	s_waitcnt vmcnt(3) lgkmcnt(3)
	v_mul_f64 v[18:19], v[2:3], v[32:33]
	v_mul_f64 v[20:21], v[0:1], v[32:33]
	s_waitcnt vmcnt(2) lgkmcnt(1)
	v_mul_f64 v[22:23], v[12:13], v[56:57]
	s_clause 0x1
	scratch_store_b128 off, v[30:33], off offset:352
	scratch_store_b128 off, v[54:57], off offset:336
	s_waitcnt vmcnt(1)
	scratch_store_b128 off, v[50:53], off offset:320 ; 16-byte Folded Spill
	v_fma_f64 v[28:29], v[0:1], v[30:31], -v[18:19]
	v_mul_f64 v[0:1], v[10:11], v[56:57]
	v_fma_f64 v[30:31], v[2:3], v[30:31], v[20:21]
	s_waitcnt lgkmcnt(0)
	v_mul_f64 v[2:3], v[16:17], v[52:53]
	v_fma_f64 v[32:33], v[10:11], v[54:55], -v[22:23]
	s_delay_alu instid0(VALU_DEP_4) | instskip(SKIP_1) | instid1(VALU_DEP_4)
	v_fma_f64 v[34:35], v[12:13], v[54:55], v[0:1]
	v_mul_f64 v[0:1], v[14:15], v[52:53]
	v_fma_f64 v[48:49], v[14:15], v[50:51], -v[2:3]
	s_delay_alu instid0(VALU_DEP_2)
	v_fma_f64 v[50:51], v[16:17], v[50:51], v[0:1]
	ds_load_b128 v[0:3], v44 offset:3456
	ds_load_b128 v[10:13], v44 offset:4320
	s_clause 0x1
	global_load_b128 v[156:159], v[26:27], off offset:304
	global_load_b128 v[140:143], v[26:27], off offset:320
	s_waitcnt vmcnt(2) lgkmcnt(1)
	v_mul_f64 v[14:15], v[2:3], v[122:123]
	s_delay_alu instid0(VALU_DEP_1) | instskip(SKIP_1) | instid1(VALU_DEP_1)
	v_fma_f64 v[52:53], v[0:1], v[120:121], -v[14:15]
	v_mul_f64 v[0:1], v[0:1], v[122:123]
	v_fma_f64 v[54:55], v[2:3], v[120:121], v[0:1]
	s_waitcnt vmcnt(1) lgkmcnt(0)
	v_mul_f64 v[0:1], v[12:13], v[158:159]
	s_delay_alu instid0(VALU_DEP_1) | instskip(SKIP_1) | instid1(VALU_DEP_1)
	v_fma_f64 v[56:57], v[10:11], v[156:157], -v[0:1]
	v_mul_f64 v[0:1], v[10:11], v[158:159]
	v_fma_f64 v[58:59], v[12:13], v[156:157], v[0:1]
	ds_load_b128 v[0:3], v44 offset:5184
	ds_load_b128 v[10:13], v44 offset:6048
	s_clause 0x1
	global_load_b128 v[160:163], v[26:27], off offset:336
	global_load_b128 v[144:147], v[26:27], off offset:352
	s_waitcnt vmcnt(2) lgkmcnt(1)
	v_mul_f64 v[14:15], v[2:3], v[142:143]
	s_delay_alu instid0(VALU_DEP_1) | instskip(SKIP_1) | instid1(VALU_DEP_1)
	v_fma_f64 v[180:181], v[0:1], v[140:141], -v[14:15]
	v_mul_f64 v[0:1], v[0:1], v[142:143]
	v_fma_f64 v[182:183], v[2:3], v[140:141], v[0:1]
	s_waitcnt vmcnt(1) lgkmcnt(0)
	v_mul_f64 v[0:1], v[12:13], v[162:163]
	s_delay_alu instid0(VALU_DEP_1) | instskip(SKIP_1) | instid1(VALU_DEP_1)
	v_fma_f64 v[184:185], v[10:11], v[160:161], -v[0:1]
	v_mul_f64 v[0:1], v[10:11], v[162:163]
	v_fma_f64 v[186:187], v[12:13], v[160:161], v[0:1]
	ds_load_b128 v[0:3], v44 offset:6912
	ds_load_b128 v[10:13], v44 offset:7776
	global_load_b128 v[164:167], v[26:27], off offset:416
	s_waitcnt vmcnt(1) lgkmcnt(1)
	v_mul_f64 v[14:15], v[2:3], v[146:147]
	s_delay_alu instid0(VALU_DEP_1) | instskip(SKIP_1) | instid1(VALU_DEP_1)
	v_fma_f64 v[188:189], v[0:1], v[144:145], -v[14:15]
	v_mul_f64 v[0:1], v[0:1], v[146:147]
	v_fma_f64 v[190:191], v[2:3], v[144:145], v[0:1]
	ds_load_b128 v[0:3], v44 offset:10368
	ds_load_b128 v[14:17], v44 offset:11232
	s_clause 0x1
	global_load_b128 v[136:139], v[26:27], off offset:400
	global_load_b128 v[168:171], v[26:27], off offset:384
	s_waitcnt vmcnt(2) lgkmcnt(1)
	v_mul_f64 v[18:19], v[2:3], v[166:167]
	s_delay_alu instid0(VALU_DEP_1) | instskip(SKIP_1) | instid1(VALU_DEP_1)
	v_fma_f64 v[192:193], v[0:1], v[164:165], -v[18:19]
	v_mul_f64 v[0:1], v[0:1], v[166:167]
	v_fma_f64 v[194:195], v[2:3], v[164:165], v[0:1]
	ds_load_b128 v[0:3], v44 offset:8640
	ds_load_b128 v[18:21], v44 offset:9504
	s_clause 0x2
	global_load_b128 v[148:151], v[26:27], off offset:368
	global_load_b128 v[172:175], v[26:27], off offset:448
	;; [unrolled: 1-line block ×3, first 2 shown]
	s_waitcnt vmcnt(3) lgkmcnt(1)
	v_mul_f64 v[22:23], v[2:3], v[170:171]
	s_delay_alu instid0(VALU_DEP_1) | instskip(SKIP_1) | instid1(VALU_DEP_1)
	v_fma_f64 v[196:197], v[0:1], v[168:169], -v[22:23]
	v_mul_f64 v[0:1], v[0:1], v[170:171]
	v_fma_f64 v[198:199], v[2:3], v[168:169], v[0:1]
	ds_load_b128 v[0:3], v44 offset:12096
	ds_load_b128 v[22:25], v44 offset:12960
	s_waitcnt vmcnt(1) lgkmcnt(1)
	v_mul_f64 v[176:177], v[2:3], v[174:175]
	s_delay_alu instid0(VALU_DEP_1)
	v_fma_f64 v[200:201], v[0:1], v[172:173], -v[176:177]
	global_load_b128 v[176:179], v[26:27], off offset:464
	v_mul_f64 v[0:1], v[0:1], v[174:175]
	v_add_f64 v[26:27], v[54:55], -v[194:195]
	v_add_f64 v[194:195], v[34:35], -v[198:199]
	s_waitcnt vmcnt(0) lgkmcnt(0)
	s_waitcnt_vscnt null, 0x0
	s_barrier
	buffer_gl0_inv
	v_fma_f64 v[202:203], v[2:3], v[172:173], v[0:1]
	v_mul_f64 v[0:1], v[12:13], v[150:151]
	v_add_f64 v[2:3], v[8:9], -v[190:191]
	v_fma_f64 v[34:35], v[34:35], 2.0, -v[194:195]
	s_delay_alu instid0(VALU_DEP_4) | instskip(NEXT) | instid1(VALU_DEP_4)
	v_add_f64 v[198:199], v[182:183], -v[202:203]
	v_fma_f64 v[204:205], v[10:11], v[148:149], -v[0:1]
	v_mul_f64 v[0:1], v[10:11], v[150:151]
	v_fma_f64 v[190:191], v[8:9], 2.0, -v[2:3]
	v_fma_f64 v[8:9], v[54:55], 2.0, -v[26:27]
	s_delay_alu instid0(VALU_DEP_3) | instskip(SKIP_1) | instid1(VALU_DEP_2)
	v_fma_f64 v[10:11], v[12:13], v[148:149], v[0:1]
	v_mul_f64 v[0:1], v[16:17], v[154:155]
	v_add_f64 v[202:203], v[30:31], -v[10:11]
	s_delay_alu instid0(VALU_DEP_2) | instskip(SKIP_1) | instid1(VALU_DEP_3)
	v_fma_f64 v[12:13], v[14:15], v[152:153], -v[0:1]
	v_mul_f64 v[0:1], v[14:15], v[154:155]
	v_fma_f64 v[30:31], v[30:31], 2.0, -v[202:203]
	s_delay_alu instid0(VALU_DEP_2) | instskip(SKIP_1) | instid1(VALU_DEP_2)
	v_fma_f64 v[14:15], v[16:17], v[152:153], v[0:1]
	v_mul_f64 v[0:1], v[20:21], v[138:139]
	v_add_f64 v[14:15], v[58:59], -v[14:15]
	s_delay_alu instid0(VALU_DEP_2) | instskip(SKIP_1) | instid1(VALU_DEP_2)
	v_fma_f64 v[16:17], v[18:19], v[136:137], -v[0:1]
	v_mul_f64 v[0:1], v[18:19], v[138:139]
	v_add_f64 v[206:207], v[48:49], -v[16:17]
	s_delay_alu instid0(VALU_DEP_2) | instskip(NEXT) | instid1(VALU_DEP_2)
	v_fma_f64 v[18:19], v[20:21], v[136:137], v[0:1]
	v_fma_f64 v[54:55], v[48:49], 2.0, -v[206:207]
	s_delay_alu instid0(VALU_DEP_2) | instskip(SKIP_2) | instid1(VALU_DEP_3)
	v_add_f64 v[18:19], v[50:51], -v[18:19]
	v_lshlrev_b32_e32 v48, 4, v4
	v_mul_f64 v[0:1], v[22:23], v[178:179]
	v_fma_f64 v[49:50], v[50:51], 2.0, -v[18:19]
	s_delay_alu instid0(VALU_DEP_2)
	v_fma_f64 v[20:21], v[24:25], v[176:177], v[0:1]
	v_mul_f64 v[0:1], v[24:25], v[178:179]
	v_add_f64 v[24:25], v[52:53], -v[192:193]
	v_add_f64 v[192:193], v[32:33], -v[196:197]
	;; [unrolled: 1-line block ×5, first 2 shown]
	v_fma_f64 v[12:13], v[182:183], 2.0, -v[198:199]
	v_add_f64 v[182:183], v[190:191], -v[8:9]
	v_add_f64 v[16:17], v[186:187], -v[20:21]
	v_fma_f64 v[22:23], v[22:23], v[176:177], -v[0:1]
	v_add_f64 v[0:1], v[6:7], -v[188:189]
	v_fma_f64 v[32:33], v[32:33], 2.0, -v[192:193]
	v_fma_f64 v[10:11], v[180:181], 2.0, -v[196:197]
	v_add_f64 v[198:199], v[192:193], -v[198:199]
	v_add_f64 v[196:197], v[194:195], v[196:197]
	v_add_f64 v[20:21], v[184:185], -v[22:23]
	v_fma_f64 v[188:189], v[6:7], 2.0, -v[0:1]
	v_fma_f64 v[6:7], v[52:53], 2.0, -v[24:25]
	;; [unrolled: 1-line block ×6, first 2 shown]
	v_add_f64 v[186:187], v[34:35], -v[12:13]
	v_add_f64 v[26:27], v[0:1], -v[26:27]
	v_add_f64 v[24:25], v[2:3], v[24:25]
	v_add_f64 v[204:205], v[202:203], v[204:205]
	v_fma_f64 v[58:59], v[184:185], 2.0, -v[20:21]
	v_add_f64 v[184:185], v[32:33], -v[10:11]
	v_add_f64 v[180:181], v[188:189], -v[6:7]
	v_add_f64 v[20:21], v[18:19], v[20:21]
	v_add_f64 v[210:211], v[30:31], -v[28:29]
	v_add_f64 v[208:209], v[52:53], -v[22:23]
	;; [unrolled: 1-line block ×4, first 2 shown]
	v_add_f64 v[28:29], v[182:183], v[184:185]
	v_add_f64 v[22:23], v[180:181], -v[186:187]
	v_fma_f64 v[18:19], v[18:19], 2.0, -v[20:21]
	v_fma_f64 v[4:5], v[188:189], 2.0, -v[180:181]
	;; [unrolled: 1-line block ×3, first 2 shown]
	v_add_f64 v[10:11], v[208:209], -v[56:57]
	v_add_f64 v[12:13], v[210:211], v[58:59]
	v_fma_f64 v[216:217], v[182:183], 2.0, -v[28:29]
	v_fma_f64 v[214:215], v[180:181], 2.0, -v[22:23]
	;; [unrolled: 1-line block ×3, first 2 shown]
	v_fma_f64 v[6:7], v[10:11], s[12:13], v[22:23]
	v_fma_f64 v[212:213], v[208:209], 2.0, -v[10:11]
	v_fma_f64 v[8:9], v[12:13], s[12:13], v[28:29]
	s_delay_alu instid0(VALU_DEP_3) | instskip(NEXT) | instid1(VALU_DEP_2)
	v_fma_f64 v[6:7], v[12:13], s[10:11], v[6:7]
	v_fma_f64 v[8:9], v[10:11], s[12:13], v[8:9]
	v_fma_f64 v[10:11], v[210:211], 2.0, -v[12:13]
	v_fma_f64 v[12:13], v[212:213], s[10:11], v[214:215]
	s_delay_alu instid0(VALU_DEP_4) | instskip(NEXT) | instid1(VALU_DEP_3)
	v_fma_f64 v[22:23], v[22:23], 2.0, -v[6:7]
	v_fma_f64 v[218:219], v[10:11], s[10:11], v[216:217]
	s_delay_alu instid0(VALU_DEP_3) | instskip(NEXT) | instid1(VALU_DEP_2)
	v_fma_f64 v[10:11], v[10:11], s[10:11], v[12:13]
	v_fma_f64 v[12:13], v[212:213], s[12:13], v[218:219]
	v_add_f64 v[212:213], v[200:201], -v[14:15]
	v_fma_f64 v[14:15], v[198:199], s[12:13], v[26:27]
	v_add_f64 v[218:219], v[206:207], -v[16:17]
	v_fma_f64 v[16:17], v[20:21], s[12:13], v[204:205]
	s_delay_alu instid0(VALU_DEP_4) | instskip(NEXT) | instid1(VALU_DEP_4)
	v_fma_f64 v[200:201], v[200:201], 2.0, -v[212:213]
	v_fma_f64 v[220:221], v[196:197], s[10:11], v[14:15]
	v_fma_f64 v[14:15], v[196:197], s[12:13], v[24:25]
	s_delay_alu instid0(VALU_DEP_4) | instskip(SKIP_1) | instid1(VALU_DEP_3)
	v_fma_f64 v[16:17], v[218:219], s[12:13], v[16:17]
	v_fma_f64 v[206:207], v[206:207], 2.0, -v[218:219]
	v_fma_f64 v[222:223], v[198:199], s[12:13], v[14:15]
	v_fma_f64 v[14:15], v[218:219], s[12:13], v[212:213]
	s_delay_alu instid0(VALU_DEP_2) | instskip(NEXT) | instid1(VALU_DEP_2)
	v_fma_f64 v[226:227], v[16:17], s[22:23], v[222:223]
	v_fma_f64 v[14:15], v[20:21], s[10:11], v[14:15]
	v_fma_f64 v[240:241], v[24:25], 2.0, -v[222:223]
	v_fma_f64 v[24:25], v[2:3], 2.0, -v[24:25]
	;; [unrolled: 1-line block ×3, first 2 shown]
	v_fma_f64 v[20:21], v[206:207], s[10:11], v[200:201]
	v_fma_f64 v[238:239], v[14:15], s[20:21], v[226:227]
	v_fma_f64 v[226:227], v[26:27], 2.0, -v[220:221]
	v_fma_f64 v[26:27], v[0:1], 2.0, -v[26:27]
	;; [unrolled: 1-line block ×4, first 2 shown]
	v_fma_f64 v[194:195], v[2:3], s[10:11], v[24:25]
	v_fma_f64 v[20:21], v[18:19], s[10:11], v[20:21]
	;; [unrolled: 1-line block ×3, first 2 shown]
	s_delay_alu instid0(VALU_DEP_4) | instskip(NEXT) | instid1(VALU_DEP_4)
	v_fma_f64 v[18:19], v[18:19], s[10:11], v[192:193]
	v_fma_f64 v[194:195], v[0:1], s[12:13], v[194:195]
	;; [unrolled: 1-line block ×3, first 2 shown]
	v_fma_f64 v[198:199], v[200:201], 2.0, -v[20:21]
	v_fma_f64 v[236:237], v[16:17], s[18:19], v[224:225]
	v_fma_f64 v[224:225], v[212:213], 2.0, -v[14:15]
	v_fma_f64 v[14:15], v[204:205], 2.0, -v[16:17]
	v_fma_f64 v[18:19], v[206:207], s[12:13], v[18:19]
	v_fma_f64 v[196:197], v[2:3], s[10:11], v[0:1]
	s_delay_alu instid0(VALU_DEP_4) | instskip(NEXT) | instid1(VALU_DEP_4)
	v_fma_f64 v[16:17], v[224:225], s[18:19], v[226:227]
	v_fma_f64 v[242:243], v[14:15], s[18:19], v[240:241]
	s_delay_alu instid0(VALU_DEP_4) | instskip(NEXT) | instid1(VALU_DEP_4)
	;; [unrolled: 3-line block ×4, first 2 shown]
	v_fma_f64 v[2:3], v[20:21], s[22:23], v[0:1]
	v_fma_f64 v[0:1], v[18:19], s[14:15], v[200:201]
	v_fma_f64 v[18:19], v[192:193], 2.0, -v[18:19]
	v_fma_f64 v[192:193], v[26:27], 2.0, -v[196:197]
	;; [unrolled: 1-line block ×4, first 2 shown]
	s_delay_alu instid0(VALU_DEP_3) | instskip(NEXT) | instid1(VALU_DEP_3)
	v_fma_f64 v[20:21], v[198:199], s[14:15], v[192:193]
	v_fma_f64 v[24:25], v[18:19], s[14:15], v[200:201]
	s_delay_alu instid0(VALU_DEP_2) | instskip(NEXT) | instid1(VALU_DEP_2)
	v_fma_f64 v[18:19], v[18:19], s[18:19], v[20:21]
	v_fma_f64 v[20:21], v[198:199], s[20:21], v[24:25]
	v_fma_f64 v[24:25], v[28:29], 2.0, -v[8:9]
	v_fma_f64 v[28:29], v[222:223], 2.0, -v[238:239]
	ds_store_b128 v48, v[22:25] offset:1728
	ds_store_b128 v48, v[26:29] offset:2016
	v_fma_f64 v[22:23], v[214:215], 2.0, -v[10:11]
	v_fma_f64 v[24:25], v[216:217], 2.0, -v[12:13]
	ds_store_b128 v48, v[10:13] offset:2880
	ds_store_b128 v48, v[14:17] offset:3168
	v_fma_f64 v[10:11], v[226:227], 2.0, -v[14:15]
	v_fma_f64 v[12:13], v[240:241], 2.0, -v[16:17]
	;; [unrolled: 1-line block ×7, first 2 shown]
	v_add_f64 v[34:35], v[4:5], -v[14:15]
	v_add_f64 v[49:50], v[180:181], -v[16:17]
	s_delay_alu instid0(VALU_DEP_4) | instskip(NEXT) | instid1(VALU_DEP_4)
	v_add_f64 v[51:52], v[30:31], -v[26:27]
	v_add_f64 v[53:54], v[32:33], -v[28:29]
	s_delay_alu instid0(VALU_DEP_4) | instskip(NEXT) | instid1(VALU_DEP_3)
	v_fma_f64 v[4:5], v[4:5], 2.0, -v[34:35]
	v_add_f64 v[14:15], v[34:35], -v[51:52]
	s_delay_alu instid0(VALU_DEP_3) | instskip(NEXT) | instid1(VALU_DEP_2)
	v_add_f64 v[16:17], v[49:50], v[53:54]
	v_fma_f64 v[26:27], v[34:35], 2.0, -v[14:15]
	s_delay_alu instid0(VALU_DEP_2)
	v_fma_f64 v[28:29], v[49:50], 2.0, -v[16:17]
	ds_store_b128 v48, v[14:17] offset:3456
	v_fma_f64 v[14:15], v[196:197], 2.0, -v[0:1]
	v_fma_f64 v[16:17], v[194:195], 2.0, -v[2:3]
	ds_store_b128 v48, v[0:3] offset:3744
	ds_store_b128 v48, v[22:25] offset:576
	;; [unrolled: 1-line block ×5, first 2 shown]
	v_fma_f64 v[12:13], v[180:181], 2.0, -v[49:50]
	v_fma_f64 v[0:1], v[32:33], 2.0, -v[53:54]
	;; [unrolled: 1-line block ×3, first 2 shown]
	s_delay_alu instid0(VALU_DEP_2) | instskip(NEXT) | instid1(VALU_DEP_2)
	v_add_f64 v[0:1], v[4:5], -v[0:1]
	v_add_f64 v[2:3], v[12:13], -v[2:3]
	s_delay_alu instid0(VALU_DEP_2) | instskip(NEXT) | instid1(VALU_DEP_2)
	v_fma_f64 v[10:11], v[4:5], 2.0, -v[0:1]
	v_fma_f64 v[12:13], v[12:13], 2.0, -v[2:3]
	ds_store_b128 v48, v[0:3] offset:2304
	v_fma_f64 v[0:1], v[192:193], 2.0, -v[18:19]
	v_fma_f64 v[2:3], v[200:201], 2.0, -v[20:21]
	ds_store_b128 v48, v[18:21] offset:2592
	ds_store_b128 v48, v[10:13]
	ds_store_b128 v48, v[0:3] offset:288
	ds_store_b128 v48, v[6:9] offset:4032
	ds_store_b128 v48, v[236:239] offset:4320
	s_waitcnt lgkmcnt(0)
	s_barrier
	buffer_gl0_inv
	ds_load_b128 v[0:3], v44
	ds_load_b128 v[252:255], v44 offset:864
	ds_load_b128 v[12:15], v44 offset:9216
	ds_load_b128 v[4:7], v44 offset:10080
	ds_load_b128 v[8:11], v44 offset:5472
	ds_load_b128 v[212:215], v44 offset:6336
	ds_load_b128 v[248:251], v44 offset:1728
	ds_load_b128 v[244:247], v44 offset:2592
	ds_load_b128 v[216:219], v44 offset:10944
	ds_load_b128 v[220:223], v44 offset:11808
	ds_load_b128 v[16:19], v44 offset:4608
	ds_load_b128 v[240:243], v44 offset:3456
	ds_load_b128 v[224:227], v44 offset:7200
	ds_load_b128 v[184:187], v44 offset:8064
	ds_load_b128 v[180:183], v44 offset:12672
	s_and_saveexec_b32 s1, vcc_lo
	s_cbranch_execz .LBB0_13
; %bb.12:
	ds_load_b128 v[236:239], v44 offset:4320
	ds_load_b128 v[228:231], v44 offset:8928
	;; [unrolled: 1-line block ×3, first 2 shown]
.LBB0_13:
	s_or_b32 exec_lo, exec_lo, s1
	scratch_load_b32 v45, off, off          ; 4-byte Folded Reload
	s_mov_b32 s11, 0xbfebb67a
	s_waitcnt vmcnt(0)
	v_lshlrev_b32_e32 v20, 5, v45
	s_delay_alu instid0(VALU_DEP_1) | instskip(NEXT) | instid1(VALU_DEP_1)
	v_add_co_u32 v22, s1, s2, v20
	v_add_co_ci_u32_e64 v23, null, s3, 0, s1
	s_delay_alu instid0(VALU_DEP_2) | instskip(NEXT) | instid1(VALU_DEP_1)
	v_add_co_u32 v20, s1, 0x1000, v22
	v_add_co_ci_u32_e64 v21, s1, 0, v23, s1
	v_add_co_u32 v22, s1, 0x11d0, v22
	s_delay_alu instid0(VALU_DEP_1)
	v_add_co_ci_u32_e64 v23, s1, 0, v23, s1
	s_clause 0x1
	global_load_b128 v[188:191], v[20:21], off offset:464
	global_load_b128 v[192:195], v[22:23], off offset:16
	s_waitcnt vmcnt(1) lgkmcnt(4)
	v_mul_f64 v[20:21], v[18:19], v[190:191]
	s_delay_alu instid0(VALU_DEP_1) | instskip(SKIP_1) | instid1(VALU_DEP_1)
	v_fma_f64 v[20:21], v[16:17], v[188:189], -v[20:21]
	v_mul_f64 v[16:17], v[16:17], v[190:191]
	v_fma_f64 v[16:17], v[18:19], v[188:189], v[16:17]
	s_waitcnt vmcnt(0)
	v_mul_f64 v[18:19], v[14:15], v[194:195]
	s_delay_alu instid0(VALU_DEP_1) | instskip(SKIP_1) | instid1(VALU_DEP_1)
	v_fma_f64 v[18:19], v[12:13], v[192:193], -v[18:19]
	v_mul_f64 v[12:13], v[12:13], v[194:195]
	v_fma_f64 v[12:13], v[14:15], v[192:193], v[12:13]
	v_lshlrev_b32_e32 v14, 5, v41
	s_delay_alu instid0(VALU_DEP_1) | instskip(NEXT) | instid1(VALU_DEP_1)
	v_add_co_u32 v22, s1, s2, v14
	v_add_co_ci_u32_e64 v23, null, s3, 0, s1
	s_delay_alu instid0(VALU_DEP_2) | instskip(NEXT) | instid1(VALU_DEP_1)
	v_add_co_u32 v14, s1, 0x1000, v22
	v_add_co_ci_u32_e64 v15, s1, 0, v23, s1
	v_add_co_u32 v22, s1, 0x11d0, v22
	s_delay_alu instid0(VALU_DEP_1)
	v_add_co_ci_u32_e64 v23, s1, 0, v23, s1
	s_clause 0x1
	global_load_b128 v[196:199], v[14:15], off offset:464
	global_load_b128 v[200:203], v[22:23], off offset:16
	s_waitcnt vmcnt(1)
	v_mul_f64 v[14:15], v[10:11], v[198:199]
	s_delay_alu instid0(VALU_DEP_1) | instskip(SKIP_1) | instid1(VALU_DEP_1)
	v_fma_f64 v[22:23], v[8:9], v[196:197], -v[14:15]
	v_mul_f64 v[8:9], v[8:9], v[198:199]
	v_fma_f64 v[14:15], v[10:11], v[196:197], v[8:9]
	s_waitcnt vmcnt(0)
	v_mul_f64 v[8:9], v[6:7], v[202:203]
	s_delay_alu instid0(VALU_DEP_1) | instskip(SKIP_1) | instid1(VALU_DEP_1)
	v_fma_f64 v[24:25], v[4:5], v[200:201], -v[8:9]
	v_mul_f64 v[4:5], v[4:5], v[202:203]
	v_fma_f64 v[26:27], v[6:7], v[200:201], v[4:5]
	v_lshlrev_b32_e32 v4, 5, v42
	s_delay_alu instid0(VALU_DEP_1) | instskip(NEXT) | instid1(VALU_DEP_1)
	v_add_co_u32 v6, s1, s2, v4
	v_add_co_ci_u32_e64 v7, null, s3, 0, s1
	s_delay_alu instid0(VALU_DEP_2) | instskip(NEXT) | instid1(VALU_DEP_1)
	v_add_co_u32 v4, s1, 0x1000, v6
	v_add_co_ci_u32_e64 v5, s1, 0, v7, s1
	v_add_co_u32 v6, s1, 0x11d0, v6
	s_delay_alu instid0(VALU_DEP_1)
	v_add_co_ci_u32_e64 v7, s1, 0, v7, s1
	s_clause 0x1
	global_load_b128 v[204:207], v[4:5], off offset:464
	global_load_b128 v[208:211], v[6:7], off offset:16
	s_waitcnt vmcnt(1)
	v_mul_f64 v[4:5], v[214:215], v[206:207]
	s_delay_alu instid0(VALU_DEP_1) | instskip(SKIP_1) | instid1(VALU_DEP_1)
	v_fma_f64 v[28:29], v[212:213], v[204:205], -v[4:5]
	v_mul_f64 v[4:5], v[212:213], v[206:207]
	v_fma_f64 v[30:31], v[214:215], v[204:205], v[4:5]
	s_waitcnt vmcnt(0)
	v_mul_f64 v[4:5], v[218:219], v[210:211]
	s_delay_alu instid0(VALU_DEP_1) | instskip(SKIP_1) | instid1(VALU_DEP_1)
	v_fma_f64 v[32:33], v[216:217], v[208:209], -v[4:5]
	v_mul_f64 v[4:5], v[216:217], v[210:211]
	v_fma_f64 v[34:35], v[218:219], v[208:209], v[4:5]
	v_lshlrev_b32_e32 v4, 5, v39
	s_delay_alu instid0(VALU_DEP_1) | instskip(NEXT) | instid1(VALU_DEP_1)
	v_add_co_u32 v6, s1, s2, v4
	v_add_co_ci_u32_e64 v7, null, s3, 0, s1
	s_delay_alu instid0(VALU_DEP_2) | instskip(NEXT) | instid1(VALU_DEP_1)
	v_add_co_u32 v4, s1, 0x1000, v6
	v_add_co_ci_u32_e64 v5, s1, 0, v7, s1
	v_add_co_u32 v6, s1, 0x11d0, v6
	s_delay_alu instid0(VALU_DEP_1)
	v_add_co_ci_u32_e64 v7, s1, 0, v7, s1
	s_clause 0x1
	global_load_b128 v[212:215], v[4:5], off offset:464
	global_load_b128 v[216:219], v[6:7], off offset:16
	s_waitcnt vmcnt(1) lgkmcnt(2)
	v_mul_f64 v[4:5], v[226:227], v[214:215]
	s_delay_alu instid0(VALU_DEP_1) | instskip(SKIP_1) | instid1(VALU_DEP_1)
	v_fma_f64 v[40:41], v[224:225], v[212:213], -v[4:5]
	v_mul_f64 v[4:5], v[224:225], v[214:215]
	v_fma_f64 v[42:43], v[226:227], v[212:213], v[4:5]
	s_waitcnt vmcnt(0)
	v_mul_f64 v[4:5], v[222:223], v[218:219]
	s_delay_alu instid0(VALU_DEP_1) | instskip(SKIP_1) | instid1(VALU_DEP_1)
	v_fma_f64 v[49:50], v[220:221], v[216:217], -v[4:5]
	v_mul_f64 v[4:5], v[220:221], v[218:219]
	v_fma_f64 v[51:52], v[222:223], v[216:217], v[4:5]
	v_lshlrev_b32_e32 v4, 5, v38
	s_delay_alu instid0(VALU_DEP_1) | instskip(NEXT) | instid1(VALU_DEP_1)
	v_add_co_u32 v6, s1, s2, v4
	v_add_co_ci_u32_e64 v7, null, s3, 0, s1
	s_delay_alu instid0(VALU_DEP_2) | instskip(NEXT) | instid1(VALU_DEP_1)
	v_add_co_u32 v4, s1, 0x1000, v6
	v_add_co_ci_u32_e64 v5, s1, 0, v7, s1
	v_add_co_u32 v6, s1, 0x11d0, v6
	s_delay_alu instid0(VALU_DEP_1)
	v_add_co_ci_u32_e64 v7, s1, 0, v7, s1
	s_clause 0x1
	global_load_b128 v[220:223], v[4:5], off offset:464
	global_load_b128 v[224:227], v[6:7], off offset:16
	s_waitcnt vmcnt(1) lgkmcnt(1)
	v_mul_f64 v[4:5], v[186:187], v[222:223]
	s_delay_alu instid0(VALU_DEP_1) | instskip(SKIP_1) | instid1(VALU_DEP_1)
	v_fma_f64 v[53:54], v[184:185], v[220:221], -v[4:5]
	v_mul_f64 v[4:5], v[184:185], v[222:223]
	v_fma_f64 v[55:56], v[186:187], v[220:221], v[4:5]
	s_waitcnt vmcnt(0) lgkmcnt(0)
	v_mul_f64 v[4:5], v[182:183], v[226:227]
	s_delay_alu instid0(VALU_DEP_1) | instskip(SKIP_1) | instid1(VALU_DEP_1)
	v_fma_f64 v[57:58], v[180:181], v[224:225], -v[4:5]
	v_mul_f64 v[4:5], v[180:181], v[226:227]
	v_fma_f64 v[180:181], v[182:183], v[224:225], v[4:5]
	v_add_co_u32 v4, s1, 0xffffffee, v45
	s_delay_alu instid0(VALU_DEP_1) | instskip(NEXT) | instid1(VALU_DEP_1)
	v_add_co_ci_u32_e64 v5, null, 0, -1, s1
	v_dual_cndmask_b32 v4, v4, v36 :: v_dual_cndmask_b32 v5, v5, v37
	s_delay_alu instid0(VALU_DEP_1) | instskip(NEXT) | instid1(VALU_DEP_1)
	v_lshlrev_b64 v[4:5], 5, v[4:5]
	v_add_co_u32 v6, s1, s2, v4
	s_delay_alu instid0(VALU_DEP_1) | instskip(SKIP_1) | instid1(VALU_DEP_2)
	v_add_co_ci_u32_e64 v7, s1, s3, v5, s1
	s_mov_b32 s2, 0xe8584caa
	v_add_co_u32 v4, s1, 0x1000, v6
	s_delay_alu instid0(VALU_DEP_1) | instskip(SKIP_1) | instid1(VALU_DEP_1)
	v_add_co_ci_u32_e64 v5, s1, 0, v7, s1
	v_add_co_u32 v6, s1, 0x11d0, v6
	v_add_co_ci_u32_e64 v7, s1, 0, v7, s1
	s_clause 0x1
	global_load_b128 v[8:11], v[4:5], off offset:464
	global_load_b128 v[36:39], v[6:7], off offset:16
	s_mov_b32 s3, 0x3febb67a
	s_mov_b32 s10, s2
	s_waitcnt vmcnt(1)
	v_mul_f64 v[4:5], v[230:231], v[10:11]
	scratch_store_b128 off, v[8:11], off offset:384 ; 16-byte Folded Spill
	s_waitcnt vmcnt(0)
	scratch_store_b128 off, v[36:39], off offset:400 ; 16-byte Folded Spill
	v_fma_f64 v[182:183], v[228:229], v[8:9], -v[4:5]
	v_mul_f64 v[4:5], v[228:229], v[10:11]
	s_delay_alu instid0(VALU_DEP_1) | instskip(SKIP_3) | instid1(VALU_DEP_3)
	v_fma_f64 v[184:185], v[230:231], v[8:9], v[4:5]
	v_mul_f64 v[4:5], v[234:235], v[38:39]
	v_add_f64 v[8:9], v[16:17], -v[12:13]
	v_add_f64 v[230:231], v[248:249], v[28:29]
	v_fma_f64 v[186:187], v[232:233], v[36:37], -v[4:5]
	v_mul_f64 v[4:5], v[232:233], v[38:39]
	s_delay_alu instid0(VALU_DEP_1) | instskip(SKIP_2) | instid1(VALU_DEP_2)
	v_fma_f64 v[228:229], v[234:235], v[36:37], v[4:5]
	v_add_f64 v[4:5], v[20:21], v[18:19]
	v_add_f64 v[234:235], v[244:245], v[40:41]
	v_fma_f64 v[6:7], v[4:5], -0.5, v[0:1]
	v_add_f64 v[4:5], v[16:17], v[12:13]
	v_add_f64 v[0:1], v[0:1], v[20:21]
	s_delay_alu instid0(VALU_DEP_2)
	v_fma_f64 v[10:11], v[4:5], -0.5, v[2:3]
	v_add_f64 v[2:3], v[2:3], v[16:17]
	v_fma_f64 v[4:5], v[8:9], s[2:3], v[6:7]
	v_fma_f64 v[8:9], v[8:9], s[10:11], v[6:7]
	v_add_f64 v[0:1], v[0:1], v[18:19]
	v_add_f64 v[16:17], v[252:253], v[22:23]
	;; [unrolled: 1-line block ×3, first 2 shown]
	v_add_f64 v[12:13], v[20:21], -v[18:19]
	v_add_f64 v[20:21], v[14:15], -v[26:27]
	s_delay_alu instid0(VALU_DEP_2) | instskip(SKIP_3) | instid1(VALU_DEP_2)
	v_fma_f64 v[6:7], v[12:13], s[10:11], v[10:11]
	v_fma_f64 v[10:11], v[12:13], s[2:3], v[10:11]
	v_add_f64 v[12:13], v[22:23], v[24:25]
	v_add_f64 v[22:23], v[22:23], -v[24:25]
	v_fma_f64 v[18:19], v[12:13], -0.5, v[252:253]
	v_add_f64 v[12:13], v[14:15], v[26:27]
	s_delay_alu instid0(VALU_DEP_1) | instskip(SKIP_1) | instid1(VALU_DEP_1)
	v_fma_f64 v[36:37], v[12:13], -0.5, v[254:255]
	v_add_f64 v[12:13], v[254:255], v[14:15]
	v_add_f64 v[14:15], v[12:13], v[26:27]
	;; [unrolled: 1-line block ×4, first 2 shown]
	v_fma_f64 v[16:17], v[20:21], s[2:3], v[18:19]
	v_fma_f64 v[20:21], v[20:21], s[10:11], v[18:19]
	;; [unrolled: 1-line block ×4, first 2 shown]
	v_fma_f64 v[36:37], v[24:25], -0.5, v[248:249]
	v_add_f64 v[24:25], v[30:31], v[34:35]
	s_delay_alu instid0(VALU_DEP_1) | instskip(SKIP_2) | instid1(VALU_DEP_2)
	v_fma_f64 v[38:39], v[24:25], -0.5, v[250:251]
	v_add_f64 v[24:25], v[250:251], v[30:31]
	v_add_f64 v[30:31], v[30:31], -v[34:35]
	v_add_f64 v[26:27], v[24:25], v[34:35]
	v_add_f64 v[24:25], v[230:231], v[32:33]
	v_add_f64 v[34:35], v[28:29], -v[32:33]
	s_delay_alu instid0(VALU_DEP_4)
	v_fma_f64 v[28:29], v[30:31], s[2:3], v[36:37]
	v_fma_f64 v[32:33], v[30:31], s[10:11], v[36:37]
	v_add_f64 v[36:37], v[40:41], v[49:50]
	v_add_f64 v[40:41], v[40:41], -v[49:50]
	v_fma_f64 v[30:31], v[34:35], s[10:11], v[38:39]
	v_fma_f64 v[34:35], v[34:35], s[2:3], v[38:39]
	s_delay_alu instid0(VALU_DEP_4) | instskip(SKIP_1) | instid1(VALU_DEP_1)
	v_fma_f64 v[230:231], v[36:37], -0.5, v[244:245]
	v_add_f64 v[36:37], v[42:43], v[51:52]
	v_fma_f64 v[232:233], v[36:37], -0.5, v[246:247]
	v_add_f64 v[36:37], v[246:247], v[42:43]
	v_add_f64 v[42:43], v[42:43], -v[51:52]
	s_delay_alu instid0(VALU_DEP_3) | instskip(NEXT) | instid1(VALU_DEP_3)
	v_fma_f64 v[246:247], v[40:41], s[10:11], v[232:233]
	v_add_f64 v[38:39], v[36:37], v[51:52]
	v_add_f64 v[36:37], v[234:235], v[49:50]
	s_delay_alu instid0(VALU_DEP_4)
	v_fma_f64 v[244:245], v[42:43], s[2:3], v[230:231]
	v_fma_f64 v[248:249], v[42:43], s[10:11], v[230:231]
	v_add_f64 v[42:43], v[55:56], v[180:181]
	v_add_f64 v[49:50], v[242:243], v[55:56]
	v_fma_f64 v[250:251], v[40:41], s[2:3], v[232:233]
	v_add_f64 v[40:41], v[53:54], v[57:58]
	v_add_f64 v[51:52], v[240:241], v[53:54]
	v_add_f64 v[55:56], v[55:56], -v[180:181]
	v_fma_f64 v[42:43], v[42:43], -0.5, v[242:243]
	v_add_f64 v[242:243], v[49:50], v[180:181]
	v_add_f64 v[49:50], v[53:54], -v[57:58]
	v_fma_f64 v[40:41], v[40:41], -0.5, v[240:241]
	v_add_f64 v[240:241], v[51:52], v[57:58]
	v_add_f64 v[51:52], v[184:185], v[228:229]
	v_add_f64 v[53:54], v[238:239], v[184:185]
	v_add_f64 v[57:58], v[184:185], -v[228:229]
	v_fma_f64 v[254:255], v[49:50], s[10:11], v[42:43]
	v_fma_f64 v[42:43], v[49:50], s[2:3], v[42:43]
	v_add_f64 v[49:50], v[182:183], v[186:187]
	v_fma_f64 v[252:253], v[55:56], s[2:3], v[40:41]
	v_fma_f64 v[40:41], v[55:56], s[10:11], v[40:41]
	v_fma_f64 v[51:52], v[51:52], -0.5, v[238:239]
	v_add_f64 v[55:56], v[236:237], v[182:183]
	v_add_f64 v[230:231], v[53:54], v[228:229]
	v_add_f64 v[53:54], v[182:183], -v[186:187]
	ds_store_b128 v44, v[0:3]
	ds_store_b128 v44, v[12:15] offset:864
	ds_store_b128 v44, v[8:11] offset:9216
	;; [unrolled: 1-line block ×14, first 2 shown]
	v_fma_f64 v[49:50], v[49:50], -0.5, v[236:237]
	v_add_f64 v[228:229], v[55:56], v[186:187]
	v_fma_f64 v[234:235], v[53:54], s[10:11], v[51:52]
	v_fma_f64 v[238:239], v[53:54], s[2:3], v[51:52]
	s_delay_alu instid0(VALU_DEP_4)
	v_fma_f64 v[232:233], v[57:58], s[2:3], v[49:50]
	v_fma_f64 v[236:237], v[57:58], s[10:11], v[49:50]
	s_and_saveexec_b32 s1, vcc_lo
	s_cbranch_execz .LBB0_15
; %bb.14:
	ds_store_b128 v44, v[228:231] offset:4320
	ds_store_b128 v44, v[232:235] offset:8928
	;; [unrolled: 1-line block ×3, first 2 shown]
.LBB0_15:
	s_or_b32 exec_lo, exec_lo, s1
	s_waitcnt lgkmcnt(0)
	s_waitcnt_vscnt null, 0x0
	s_barrier
	buffer_gl0_inv
	scratch_load_b32 v0, off, off offset:372 ; 4-byte Folded Reload
	s_add_u32 s2, s16, 0x3600
	s_addc_u32 s3, s17, 0
	s_waitcnt vmcnt(0)
	global_load_b128 v[0:3], v0, s[2:3]
	scratch_load_b32 v4, off, off           ; 4-byte Folded Reload
	s_waitcnt vmcnt(0)
	v_lshlrev_b32_e32 v40, 4, v4
	s_clause 0x2
	global_load_b128 v[4:7], v40, s[2:3]
	global_load_b128 v[8:11], v40, s[2:3] offset:864
	global_load_b128 v[12:15], v40, s[2:3] offset:1728
	ds_load_b128 v[16:19], v44 offset:9216
	ds_load_b128 v[20:23], v44 offset:10080
	ds_load_b128 v[24:27], v44
	ds_load_b128 v[28:31], v44 offset:864
	v_add_co_u32 v45, s1, s2, v40
	s_delay_alu instid0(VALU_DEP_1) | instskip(SKIP_3) | instid1(VALU_DEP_2)
	v_add_co_ci_u32_e64 v46, null, s3, 0, s1
	s_waitcnt lgkmcnt(3)
	v_mul_f64 v[32:33], v[18:19], v[2:3]
	v_mul_f64 v[2:3], v[16:17], v[2:3]
	v_fma_f64 v[16:17], v[16:17], v[0:1], -v[32:33]
	s_delay_alu instid0(VALU_DEP_2)
	v_fma_f64 v[18:19], v[18:19], v[0:1], v[2:3]
	s_waitcnt vmcnt(2) lgkmcnt(1)
	v_mul_f64 v[34:35], v[26:27], v[6:7]
	v_mul_f64 v[0:1], v[24:25], v[6:7]
	s_waitcnt vmcnt(1) lgkmcnt(0)
	v_mul_f64 v[32:33], v[30:31], v[10:11]
	v_mul_f64 v[10:11], v[28:29], v[10:11]
	s_delay_alu instid0(VALU_DEP_4) | instskip(NEXT) | instid1(VALU_DEP_4)
	v_fma_f64 v[24:25], v[24:25], v[4:5], -v[34:35]
	v_fma_f64 v[26:27], v[26:27], v[4:5], v[0:1]
	ds_load_b128 v[4:7], v44 offset:1728
	global_load_b128 v[0:3], v40, s[2:3] offset:2592
	v_fma_f64 v[28:29], v[28:29], v[8:9], -v[32:33]
	v_fma_f64 v[30:31], v[30:31], v[8:9], v[10:11]
	ds_load_b128 v[8:11], v44 offset:2592
	s_waitcnt vmcnt(1) lgkmcnt(1)
	v_mul_f64 v[32:33], v[6:7], v[14:15]
	v_mul_f64 v[14:15], v[4:5], v[14:15]
	s_delay_alu instid0(VALU_DEP_2) | instskip(NEXT) | instid1(VALU_DEP_2)
	v_fma_f64 v[32:33], v[4:5], v[12:13], -v[32:33]
	v_fma_f64 v[34:35], v[6:7], v[12:13], v[14:15]
	global_load_b128 v[4:7], v40, s[2:3] offset:3456
	s_waitcnt vmcnt(1) lgkmcnt(0)
	v_mul_f64 v[12:13], v[10:11], v[2:3]
	v_mul_f64 v[2:3], v[8:9], v[2:3]
	s_delay_alu instid0(VALU_DEP_2) | instskip(NEXT) | instid1(VALU_DEP_2)
	v_fma_f64 v[8:9], v[8:9], v[0:1], -v[12:13]
	v_fma_f64 v[10:11], v[10:11], v[0:1], v[2:3]
	ds_load_b128 v[0:3], v44 offset:3456
	ds_load_b128 v[12:15], v44 offset:4608
	s_waitcnt vmcnt(0) lgkmcnt(1)
	v_mul_f64 v[36:37], v[2:3], v[6:7]
	v_mul_f64 v[6:7], v[0:1], v[6:7]
	s_delay_alu instid0(VALU_DEP_2) | instskip(NEXT) | instid1(VALU_DEP_2)
	v_fma_f64 v[36:37], v[0:1], v[4:5], -v[36:37]
	v_fma_f64 v[38:39], v[2:3], v[4:5], v[6:7]
	v_add_co_u32 v2, s1, 0x1000, v45
	s_delay_alu instid0(VALU_DEP_1)
	v_add_co_ci_u32_e64 v3, s1, 0, v46, s1
	s_clause 0x1
	global_load_b128 v[4:7], v[2:3], off offset:512
	global_load_b128 v[40:43], v[2:3], off offset:1376
	s_waitcnt vmcnt(1) lgkmcnt(0)
	v_mul_f64 v[0:1], v[14:15], v[6:7]
	v_mul_f64 v[6:7], v[12:13], v[6:7]
	s_delay_alu instid0(VALU_DEP_2) | instskip(NEXT) | instid1(VALU_DEP_2)
	v_fma_f64 v[12:13], v[12:13], v[4:5], -v[0:1]
	v_fma_f64 v[14:15], v[14:15], v[4:5], v[6:7]
	ds_load_b128 v[4:7], v44 offset:5472
	ds_load_b128 v[240:243], v44 offset:6336
	s_waitcnt vmcnt(0) lgkmcnt(1)
	v_mul_f64 v[0:1], v[6:7], v[42:43]
	v_mul_f64 v[42:43], v[4:5], v[42:43]
	s_delay_alu instid0(VALU_DEP_2) | instskip(SKIP_1) | instid1(VALU_DEP_1)
	v_fma_f64 v[244:245], v[4:5], v[40:41], -v[0:1]
	v_add_co_u32 v0, s1, 0x2000, v45
	v_add_co_ci_u32_e64 v1, s1, 0, v46, s1
	s_delay_alu instid0(VALU_DEP_4)
	v_fma_f64 v[246:247], v[6:7], v[40:41], v[42:43]
	s_clause 0x1
	global_load_b128 v[4:7], v[0:1], off offset:1888
	global_load_b128 v[40:43], v[2:3], off offset:3968
	s_waitcnt vmcnt(1)
	v_mul_f64 v[49:50], v[22:23], v[6:7]
	v_mul_f64 v[6:7], v[20:21], v[6:7]
	s_delay_alu instid0(VALU_DEP_2) | instskip(NEXT) | instid1(VALU_DEP_2)
	v_fma_f64 v[20:21], v[20:21], v[4:5], -v[49:50]
	v_fma_f64 v[22:23], v[22:23], v[4:5], v[6:7]
	s_clause 0x1
	global_load_b128 v[4:7], v[2:3], off offset:2240
	global_load_b128 v[248:251], v[2:3], off offset:3104
	s_waitcnt vmcnt(1) lgkmcnt(0)
	v_mul_f64 v[49:50], v[242:243], v[6:7]
	v_mul_f64 v[6:7], v[240:241], v[6:7]
	s_delay_alu instid0(VALU_DEP_2) | instskip(NEXT) | instid1(VALU_DEP_2)
	v_fma_f64 v[240:241], v[240:241], v[4:5], -v[49:50]
	v_fma_f64 v[242:243], v[242:243], v[4:5], v[6:7]
	s_clause 0x1
	global_load_b128 v[4:7], v[0:1], off offset:2752
	global_load_b128 v[252:255], v[0:1], off offset:3616
	ds_load_b128 v[49:52], v44 offset:10944
	ds_load_b128 v[53:56], v44 offset:11808
	s_waitcnt vmcnt(1) lgkmcnt(1)
	v_mul_f64 v[57:58], v[51:52], v[6:7]
	v_mul_f64 v[6:7], v[49:50], v[6:7]
	s_delay_alu instid0(VALU_DEP_2) | instskip(NEXT) | instid1(VALU_DEP_2)
	v_fma_f64 v[49:50], v[49:50], v[4:5], -v[57:58]
	v_fma_f64 v[51:52], v[51:52], v[4:5], v[6:7]
	ds_load_b128 v[4:7], v44 offset:7200
	ds_load_b128 v[180:183], v44 offset:8064
	s_waitcnt lgkmcnt(1)
	v_mul_f64 v[57:58], v[6:7], v[250:251]
	v_mul_f64 v[186:187], v[4:5], v[250:251]
	s_delay_alu instid0(VALU_DEP_2) | instskip(SKIP_2) | instid1(VALU_DEP_3)
	v_fma_f64 v[184:185], v[4:5], v[248:249], -v[57:58]
	s_waitcnt vmcnt(0)
	v_mul_f64 v[4:5], v[55:56], v[254:255]
	v_fma_f64 v[186:187], v[6:7], v[248:249], v[186:187]
	v_mul_f64 v[6:7], v[53:54], v[254:255]
	ds_load_b128 v[248:251], v44 offset:12672
	v_fma_f64 v[53:54], v[53:54], v[252:253], -v[4:5]
	s_waitcnt lgkmcnt(1)
	v_mul_f64 v[4:5], v[182:183], v[42:43]
	v_fma_f64 v[55:56], v[55:56], v[252:253], v[6:7]
	v_mul_f64 v[6:7], v[180:181], v[42:43]
	s_delay_alu instid0(VALU_DEP_3) | instskip(SKIP_1) | instid1(VALU_DEP_1)
	v_fma_f64 v[180:181], v[180:181], v[40:41], -v[4:5]
	v_add_co_u32 v4, s1, 0x3000, v45
	v_add_co_ci_u32_e64 v5, s1, 0, v46, s1
	s_delay_alu instid0(VALU_DEP_4) | instskip(SKIP_4) | instid1(VALU_DEP_2)
	v_fma_f64 v[182:183], v[182:183], v[40:41], v[6:7]
	global_load_b128 v[40:43], v[4:5], off offset:384
	s_waitcnt vmcnt(0) lgkmcnt(0)
	v_mul_f64 v[6:7], v[250:251], v[42:43]
	v_mul_f64 v[42:43], v[248:249], v[42:43]
	v_fma_f64 v[248:249], v[248:249], v[40:41], -v[6:7]
	s_delay_alu instid0(VALU_DEP_2)
	v_fma_f64 v[250:251], v[250:251], v[40:41], v[42:43]
	ds_store_b128 v44, v[24:27]
	ds_store_b128 v44, v[28:31] offset:864
	ds_store_b128 v44, v[32:35] offset:1728
	;; [unrolled: 1-line block ×14, first 2 shown]
	s_and_saveexec_b32 s1, vcc_lo
	s_cbranch_execz .LBB0_17
; %bb.16:
	s_clause 0x2
	global_load_b128 v[6:9], v[2:3], off offset:224
	global_load_b128 v[0:3], v[0:1], off offset:736
	;; [unrolled: 1-line block ×3, first 2 shown]
	ds_load_b128 v[14:17], v44 offset:4320
	ds_load_b128 v[18:21], v44 offset:8928
	;; [unrolled: 1-line block ×3, first 2 shown]
	s_waitcnt vmcnt(2) lgkmcnt(2)
	v_mul_f64 v[4:5], v[16:17], v[8:9]
	v_mul_f64 v[8:9], v[14:15], v[8:9]
	s_waitcnt vmcnt(1) lgkmcnt(1)
	v_mul_f64 v[26:27], v[20:21], v[2:3]
	v_mul_f64 v[28:29], v[18:19], v[2:3]
	;; [unrolled: 3-line block ×3, first 2 shown]
	v_fma_f64 v[2:3], v[14:15], v[6:7], -v[4:5]
	v_fma_f64 v[4:5], v[16:17], v[6:7], v[8:9]
	v_fma_f64 v[6:7], v[18:19], v[0:1], -v[26:27]
	v_fma_f64 v[8:9], v[20:21], v[0:1], v[28:29]
	;; [unrolled: 2-line block ×3, first 2 shown]
	ds_store_b128 v44, v[2:5] offset:4320
	ds_store_b128 v44, v[6:9] offset:8928
	ds_store_b128 v44, v[12:15] offset:13536
.LBB0_17:
	s_or_b32 exec_lo, exec_lo, s1
	s_waitcnt lgkmcnt(0)
	s_barrier
	buffer_gl0_inv
	ds_load_b128 v[16:19], v44
	ds_load_b128 v[12:15], v44 offset:864
	ds_load_b128 v[36:39], v44 offset:9216
	ds_load_b128 v[28:31], v44 offset:10080
	ds_load_b128 v[32:35], v44 offset:5472
	ds_load_b128 v[244:247], v44 offset:6336
	ds_load_b128 v[8:11], v44 offset:1728
	ds_load_b128 v[0:3], v44 offset:2592
	ds_load_b128 v[252:255], v44 offset:10944
	ds_load_b128 v[240:243], v44 offset:11808
	ds_load_b128 v[40:43], v44 offset:4608
	ds_load_b128 v[4:7], v44 offset:3456
	ds_load_b128 v[248:251], v44 offset:7200
	ds_load_b128 v[24:27], v44 offset:8064
	ds_load_b128 v[20:23], v44 offset:12672
	s_and_saveexec_b32 s1, vcc_lo
	s_cbranch_execz .LBB0_19
; %bb.18:
	ds_load_b128 v[228:231], v44 offset:4320
	ds_load_b128 v[232:235], v44 offset:8928
	;; [unrolled: 1-line block ×3, first 2 shown]
.LBB0_19:
	s_or_b32 exec_lo, exec_lo, s1
	s_waitcnt lgkmcnt(4)
	v_add_f64 v[49:50], v[16:17], v[40:41]
	v_add_f64 v[53:54], v[40:41], v[36:37]
	v_add_f64 v[180:181], v[40:41], -v[36:37]
	v_add_f64 v[40:41], v[12:13], v[32:33]
	v_add_f64 v[184:185], v[32:33], -v[28:29]
	;; [unrolled: 2-line block ×3, first 2 shown]
	s_waitcnt lgkmcnt(0)
	v_add_f64 v[63:64], v[24:25], v[20:21]
	s_barrier
	buffer_gl0_inv
	v_add_f64 v[51:52], v[18:19], v[42:43]
	v_add_f64 v[55:56], v[42:43], v[38:39]
	v_add_f64 v[57:58], v[42:43], -v[38:39]
	v_add_f64 v[42:43], v[14:15], v[34:35]
	v_add_f64 v[182:183], v[34:35], -v[30:31]
	;; [unrolled: 2-line block ×3, first 2 shown]
	v_add_f64 v[65:66], v[26:27], v[22:23]
	s_mov_b32 s2, 0xe8584caa
	s_mov_b32 s3, 0xbfebb67a
	;; [unrolled: 1-line block ×4, first 2 shown]
	v_add_f64 v[67:68], v[232:233], v[236:237]
	v_add_f64 v[73:74], v[232:233], -v[236:237]
	v_add_f64 v[69:70], v[234:235], v[238:239]
	v_add_f64 v[71:72], v[234:235], -v[238:239]
	v_add_f64 v[36:37], v[49:50], v[36:37]
	v_add_f64 v[49:50], v[32:33], v[28:29]
	;; [unrolled: 1-line block ×5, first 2 shown]
	v_fma_f64 v[8:9], v[186:187], -0.5, v[8:9]
	v_add_f64 v[38:39], v[51:52], v[38:39]
	v_add_f64 v[51:52], v[34:35], v[30:31]
	;; [unrolled: 1-line block ×5, first 2 shown]
	v_fma_f64 v[10:11], v[45:46], -0.5, v[10:11]
	v_add_f64 v[32:33], v[32:33], v[252:253]
	v_add_f64 v[252:253], v[248:249], v[240:241]
	v_add_f64 v[248:249], v[248:249], -v[240:241]
	v_add_f64 v[40:41], v[40:41], v[240:241]
	v_add_f64 v[240:241], v[4:5], v[24:25]
	v_add_f64 v[24:25], v[24:25], -v[20:21]
	;; [unrolled: 3-line block ×4, first 2 shown]
	v_add_f64 v[240:241], v[240:241], v[20:21]
	v_add_f64 v[20:21], v[228:229], v[232:233]
	s_delay_alu instid0(VALU_DEP_4) | instskip(SKIP_1) | instid1(VALU_DEP_3)
	v_add_f64 v[242:243], v[242:243], v[22:23]
	v_add_f64 v[22:23], v[230:231], v[234:235]
	;; [unrolled: 1-line block ×3, first 2 shown]
	v_fma_f64 v[20:21], v[53:54], -0.5, v[16:17]
	scratch_load_b32 v53, off, off offset:300 ; 4-byte Folded Reload
	v_add_f64 v[246:247], v[22:23], v[238:239]
	v_fma_f64 v[22:23], v[55:56], -0.5, v[18:19]
	v_fma_f64 v[16:17], v[57:58], s[2:3], v[20:21]
	v_fma_f64 v[20:21], v[57:58], s[10:11], v[20:21]
	s_delay_alu instid0(VALU_DEP_3)
	v_fma_f64 v[18:19], v[180:181], s[10:11], v[22:23]
	v_fma_f64 v[22:23], v[180:181], s[2:3], v[22:23]
	s_waitcnt vmcnt(0)
	ds_store_b128 v53, v[36:39]
	ds_store_b128 v53, v[16:19] offset:16
	ds_store_b128 v53, v[20:23] offset:32
	scratch_load_b32 v20, off, off offset:296 ; 4-byte Folded Reload
	v_fma_f64 v[16:17], v[49:50], -0.5, v[12:13]
	v_fma_f64 v[18:19], v[51:52], -0.5, v[14:15]
	;; [unrolled: 1-line block ×3, first 2 shown]
	s_delay_alu instid0(VALU_DEP_3) | instskip(NEXT) | instid1(VALU_DEP_3)
	v_fma_f64 v[12:13], v[182:183], s[2:3], v[16:17]
	v_fma_f64 v[14:15], v[184:185], s[10:11], v[18:19]
	;; [unrolled: 1-line block ×4, first 2 shown]
	s_waitcnt vmcnt(0)
	ds_store_b128 v20, v[28:31]
	ds_store_b128 v20, v[12:15] offset:16
	ds_store_b128 v20, v[16:19] offset:32
	v_fma_f64 v[16:17], v[63:64], -0.5, v[4:5]
	v_fma_f64 v[20:21], v[67:68], -0.5, v[228:229]
	;; [unrolled: 1-line block ×4, first 2 shown]
	v_fma_f64 v[0:1], v[59:60], s[2:3], v[8:9]
	v_fma_f64 v[2:3], v[61:62], s[10:11], v[10:11]
	v_fma_f64 v[18:19], v[65:66], -0.5, v[6:7]
	v_fma_f64 v[4:5], v[59:60], s[10:11], v[8:9]
	v_fma_f64 v[6:7], v[61:62], s[2:3], v[10:11]
	;; [unrolled: 1-line block ×4, first 2 shown]
	scratch_load_b32 v16, off, off offset:284 ; 4-byte Folded Reload
	v_fma_f64 v[8:9], v[250:251], s[2:3], v[12:13]
	v_fma_f64 v[10:11], v[248:249], s[10:11], v[14:15]
	;; [unrolled: 1-line block ×10, first 2 shown]
	s_waitcnt vmcnt(0)
	ds_store_b128 v16, v[32:35]
	ds_store_b128 v16, v[0:3] offset:16
	ds_store_b128 v16, v[4:7] offset:32
	scratch_load_b32 v0, off, off offset:292 ; 4-byte Folded Reload
	s_waitcnt vmcnt(0)
	ds_store_b128 v0, v[40:43]
	ds_store_b128 v0, v[8:11] offset:16
	ds_store_b128 v0, v[12:15] offset:32
	scratch_load_b32 v0, off, off offset:288 ; 4-byte Folded Reload
	s_waitcnt vmcnt(0)
	ds_store_b128 v0, v[240:243]
	ds_store_b128 v0, v[228:231] offset:16
	ds_store_b128 v0, v[232:235] offset:32
	s_and_saveexec_b32 s1, vcc_lo
	s_cbranch_execz .LBB0_21
; %bb.20:
	scratch_load_b32 v0, off, off offset:380 ; 4-byte Folded Reload
	s_waitcnt vmcnt(0)
	v_lshlrev_b32_e32 v0, 4, v0
	ds_store_b128 v0, v[244:247]
	ds_store_b128 v0, v[248:251] offset:16
	ds_store_b128 v0, v[24:27] offset:32
.LBB0_21:
	s_or_b32 exec_lo, exec_lo, s1
	s_waitcnt lgkmcnt(0)
	s_barrier
	buffer_gl0_inv
	ds_load_b128 v[236:239], v44
	ds_load_b128 v[0:3], v44 offset:864
	ds_load_b128 v[12:15], v44 offset:2304
	;; [unrolled: 1-line block ×11, first 2 shown]
	s_and_saveexec_b32 s1, s0
	s_cbranch_execz .LBB0_23
; %bb.22:
	ds_load_b128 v[240:243], v44 offset:1728
	ds_load_b128 v[228:231], v44 offset:4032
	;; [unrolled: 1-line block ×6, first 2 shown]
.LBB0_23:
	s_or_b32 exec_lo, exec_lo, s1
	scratch_load_b128 v[49:52], off, off offset:304 ; 16-byte Folded Reload
	s_mov_b32 s10, 0xe8584caa
	s_mov_b32 s11, 0xbfebb67a
	;; [unrolled: 1-line block ×4, first 2 shown]
	s_waitcnt vmcnt(0) lgkmcnt(0)
	s_barrier
	buffer_gl0_inv
	v_mul_f64 v[45:46], v[51:52], v[36:37]
	s_delay_alu instid0(VALU_DEP_1) | instskip(SKIP_1) | instid1(VALU_DEP_1)
	v_fma_f64 v[45:46], v[49:50], v[38:39], -v[45:46]
	v_mul_f64 v[38:39], v[51:52], v[38:39]
	v_fma_f64 v[36:37], v[49:50], v[36:37], v[38:39]
	v_mul_f64 v[38:39], v[134:135], v[40:41]
	s_delay_alu instid0(VALU_DEP_1) | instskip(SKIP_1) | instid1(VALU_DEP_1)
	v_fma_f64 v[38:39], v[132:133], v[42:43], -v[38:39]
	v_mul_f64 v[42:43], v[134:135], v[42:43]
	v_fma_f64 v[40:41], v[132:133], v[40:41], v[42:43]
	;; [unrolled: 5-line block ×3, first 2 shown]
	v_mul_f64 v[28:29], v[130:131], v[32:33]
	v_mul_f64 v[30:31], v[114:115], v[246:247]
	s_delay_alu instid0(VALU_DEP_2) | instskip(SKIP_1) | instid1(VALU_DEP_3)
	v_fma_f64 v[59:60], v[128:129], v[34:35], -v[28:29]
	v_mul_f64 v[28:29], v[130:131], v[34:35]
	v_fma_f64 v[30:31], v[112:113], v[244:245], v[30:31]
	s_delay_alu instid0(VALU_DEP_2) | instskip(SKIP_2) | instid1(VALU_DEP_2)
	v_fma_f64 v[61:62], v[128:129], v[32:33], v[28:29]
	v_mul_f64 v[32:33], v[118:119], v[24:25]
	v_mul_f64 v[28:29], v[114:115], v[244:245]
	v_fma_f64 v[32:33], v[116:117], v[26:27], -v[32:33]
	v_mul_f64 v[26:27], v[118:119], v[26:27]
	s_delay_alu instid0(VALU_DEP_3) | instskip(NEXT) | instid1(VALU_DEP_2)
	v_fma_f64 v[28:29], v[112:113], v[246:247], -v[28:29]
	v_fma_f64 v[24:25], v[116:117], v[24:25], v[26:27]
	v_mul_f64 v[26:27], v[110:111], v[18:19]
	s_delay_alu instid0(VALU_DEP_1) | instskip(SKIP_1) | instid1(VALU_DEP_1)
	v_fma_f64 v[26:27], v[108:109], v[16:17], v[26:27]
	v_mul_f64 v[16:17], v[110:111], v[16:17]
	v_fma_f64 v[34:35], v[108:109], v[18:19], -v[16:17]
	v_mul_f64 v[16:17], v[82:83], v[22:23]
	s_delay_alu instid0(VALU_DEP_2) | instskip(NEXT) | instid1(VALU_DEP_2)
	v_add_f64 v[18:19], v[238:239], v[34:35]
	v_fma_f64 v[49:50], v[80:81], v[20:21], v[16:17]
	v_mul_f64 v[16:17], v[82:83], v[20:21]
	s_delay_alu instid0(VALU_DEP_1) | instskip(SKIP_1) | instid1(VALU_DEP_2)
	v_fma_f64 v[51:52], v[80:81], v[22:23], -v[16:17]
	v_mul_f64 v[16:17], v[106:107], v[12:13]
	v_add_f64 v[22:23], v[18:19], v[51:52]
	s_delay_alu instid0(VALU_DEP_2) | instskip(SKIP_2) | instid1(VALU_DEP_2)
	v_fma_f64 v[53:54], v[104:105], v[14:15], -v[16:17]
	v_mul_f64 v[14:15], v[106:107], v[14:15]
	v_add_f64 v[16:17], v[26:27], v[49:50]
	v_fma_f64 v[55:56], v[104:105], v[12:13], v[14:15]
	v_mul_f64 v[12:13], v[86:87], v[6:7]
	s_delay_alu instid0(VALU_DEP_1) | instskip(SKIP_1) | instid1(VALU_DEP_1)
	v_fma_f64 v[63:64], v[84:85], v[4:5], v[12:13]
	v_mul_f64 v[4:5], v[86:87], v[4:5]
	v_fma_f64 v[65:66], v[84:85], v[6:7], -v[4:5]
	v_mul_f64 v[4:5], v[90:91], v[10:11]
	s_delay_alu instid0(VALU_DEP_1) | instskip(SKIP_2) | instid1(VALU_DEP_2)
	v_fma_f64 v[67:68], v[88:89], v[8:9], v[4:5]
	v_mul_f64 v[4:5], v[90:91], v[8:9]
	v_mul_f64 v[8:9], v[94:95], v[248:249]
	v_fma_f64 v[69:70], v[88:89], v[10:11], -v[4:5]
	v_mul_f64 v[4:5], v[78:79], v[252:253]
	v_mul_f64 v[10:11], v[98:99], v[228:229]
	s_delay_alu instid0(VALU_DEP_4) | instskip(NEXT) | instid1(VALU_DEP_3)
	v_fma_f64 v[8:9], v[92:93], v[250:251], -v[8:9]
	v_fma_f64 v[71:72], v[76:77], v[254:255], -v[4:5]
	v_mul_f64 v[4:5], v[78:79], v[254:255]
	s_delay_alu instid0(VALU_DEP_4) | instskip(SKIP_1) | instid1(VALU_DEP_3)
	v_fma_f64 v[14:15], v[96:97], v[230:231], -v[10:11]
	v_mul_f64 v[10:11], v[98:99], v[230:231]
	v_fma_f64 v[73:74], v[76:77], v[252:253], v[4:5]
	v_fma_f64 v[75:76], v[16:17], -0.5, v[236:237]
	v_add_f64 v[16:17], v[34:35], v[51:52]
	v_add_f64 v[51:52], v[34:35], -v[51:52]
	v_mul_f64 v[4:5], v[102:103], v[234:235]
	v_fma_f64 v[10:11], v[96:97], v[228:229], v[10:11]
	s_delay_alu instid0(VALU_DEP_4) | instskip(SKIP_4) | instid1(VALU_DEP_4)
	v_fma_f64 v[77:78], v[16:17], -0.5, v[238:239]
	v_add_f64 v[16:17], v[236:237], v[26:27]
	v_add_f64 v[26:27], v[26:27], -v[49:50]
	v_fma_f64 v[6:7], v[100:101], v[232:233], v[4:5]
	v_mul_f64 v[4:5], v[102:103], v[232:233]
	v_add_f64 v[20:21], v[16:17], v[49:50]
	v_add_f64 v[16:17], v[55:56], v[36:37]
	s_delay_alu instid0(VALU_DEP_3) | instskip(SKIP_1) | instid1(VALU_DEP_3)
	v_fma_f64 v[12:13], v[100:101], v[234:235], -v[4:5]
	v_mul_f64 v[4:5], v[94:95], v[250:251]
	v_add_f64 v[79:80], v[16:17], v[40:41]
	v_add_f64 v[16:17], v[53:54], v[45:46]
	s_delay_alu instid0(VALU_DEP_3) | instskip(NEXT) | instid1(VALU_DEP_2)
	v_fma_f64 v[4:5], v[92:93], v[248:249], v[4:5]
	v_add_f64 v[81:82], v[16:17], v[38:39]
	s_delay_alu instid0(VALU_DEP_4) | instskip(SKIP_2) | instid1(VALU_DEP_4)
	v_add_f64 v[16:17], v[20:21], v[79:80]
	v_add_f64 v[20:21], v[20:21], -v[79:80]
	v_add_f64 v[79:80], v[36:37], v[40:41]
	v_add_f64 v[18:19], v[22:23], v[81:82]
	v_add_f64 v[22:23], v[22:23], -v[81:82]
	v_add_f64 v[81:82], v[36:37], -v[40:41]
	v_add_f64 v[36:37], v[45:46], v[38:39]
	v_add_f64 v[45:46], v[45:46], -v[38:39]
	v_fma_f64 v[49:50], v[79:80], -0.5, v[55:56]
	v_fma_f64 v[79:80], v[26:27], s[2:3], v[77:78]
	v_fma_f64 v[26:27], v[26:27], s[10:11], v[77:78]
	v_fma_f64 v[53:54], v[36:37], -0.5, v[53:54]
	s_delay_alu instid0(VALU_DEP_4) | instskip(SKIP_1) | instid1(VALU_DEP_3)
	v_fma_f64 v[38:39], v[45:46], s[10:11], v[49:50]
	v_fma_f64 v[45:46], v[45:46], s[2:3], v[49:50]
	;; [unrolled: 1-line block ×4, first 2 shown]
	s_delay_alu instid0(VALU_DEP_2) | instskip(SKIP_1) | instid1(VALU_DEP_3)
	v_mul_f64 v[36:37], v[34:35], s[10:11]
	v_mul_f64 v[34:35], v[34:35], 0.5
	v_mul_f64 v[49:50], v[53:54], s[10:11]
	s_delay_alu instid0(VALU_DEP_3) | instskip(NEXT) | instid1(VALU_DEP_3)
	v_fma_f64 v[40:41], v[38:39], 0.5, v[36:37]
	v_fma_f64 v[55:56], v[38:39], s[2:3], v[34:35]
	v_fma_f64 v[38:39], v[51:52], s[10:11], v[75:76]
	s_delay_alu instid0(VALU_DEP_2) | instskip(NEXT) | instid1(VALU_DEP_2)
	v_add_f64 v[36:37], v[79:80], v[55:56]
	v_add_f64 v[34:35], v[38:39], v[40:41]
	v_add_f64 v[38:39], v[38:39], -v[40:41]
	v_add_f64 v[40:41], v[79:80], -v[55:56]
	v_fma_f64 v[55:56], v[51:52], s[2:3], v[75:76]
	v_mul_f64 v[51:52], v[53:54], -0.5
	v_fma_f64 v[53:54], v[45:46], -0.5, v[49:50]
	s_delay_alu instid0(VALU_DEP_2) | instskip(NEXT) | instid1(VALU_DEP_2)
	v_fma_f64 v[45:46], v[45:46], s[2:3], v[51:52]
	v_add_f64 v[49:50], v[55:56], v[53:54]
	v_add_f64 v[53:54], v[55:56], -v[53:54]
	s_delay_alu instid0(VALU_DEP_3)
	v_add_f64 v[51:52], v[26:27], v[45:46]
	v_add_f64 v[55:56], v[26:27], -v[45:46]
	ds_store_b128 v47, v[16:19]
	ds_store_b128 v47, v[34:37] offset:48
	ds_store_b128 v47, v[20:23] offset:144
	;; [unrolled: 1-line block ×5, first 2 shown]
	v_add_f64 v[16:17], v[63:64], v[67:68]
	v_add_f64 v[40:41], v[57:58], -v[61:62]
	v_add_f64 v[51:52], v[63:64], -v[67:68]
	;; [unrolled: 1-line block ×3, first 2 shown]
	s_delay_alu instid0(VALU_DEP_4) | instskip(SKIP_2) | instid1(VALU_DEP_2)
	v_fma_f64 v[26:27], v[16:17], -0.5, v[0:1]
	v_add_f64 v[16:17], v[65:66], v[69:70]
	v_add_f64 v[0:1], v[0:1], v[63:64]
	v_fma_f64 v[38:39], v[16:17], -0.5, v[2:3]
	s_delay_alu instid0(VALU_DEP_2) | instskip(SKIP_2) | instid1(VALU_DEP_2)
	v_add_f64 v[16:17], v[0:1], v[67:68]
	v_add_f64 v[0:1], v[73:74], v[57:58]
	;; [unrolled: 1-line block ×5, first 2 shown]
	s_delay_alu instid0(VALU_DEP_3) | instskip(NEXT) | instid1(VALU_DEP_2)
	v_add_f64 v[18:19], v[2:3], v[69:70]
	v_add_f64 v[22:23], v[0:1], v[59:60]
	s_delay_alu instid0(VALU_DEP_4)
	v_add_f64 v[0:1], v[16:17], v[20:21]
	v_add_f64 v[16:17], v[16:17], -v[20:21]
	v_add_f64 v[20:21], v[57:58], v[61:62]
	v_fma_f64 v[57:58], v[51:52], s[2:3], v[38:39]
	v_add_f64 v[2:3], v[18:19], v[22:23]
	v_add_f64 v[18:19], v[18:19], -v[22:23]
	v_add_f64 v[22:23], v[42:43], v[59:60]
	v_add_f64 v[42:43], v[42:43], -v[59:60]
	v_fma_f64 v[53:54], v[20:21], -0.5, v[73:74]
	s_delay_alu instid0(VALU_DEP_3) | instskip(NEXT) | instid1(VALU_DEP_2)
	v_fma_f64 v[45:46], v[22:23], -0.5, v[71:72]
	v_fma_f64 v[34:35], v[42:43], s[10:11], v[53:54]
	v_fma_f64 v[42:43], v[42:43], s[2:3], v[53:54]
	s_delay_alu instid0(VALU_DEP_3) | instskip(SKIP_2) | instid1(VALU_DEP_3)
	v_fma_f64 v[20:21], v[40:41], s[2:3], v[45:46]
	v_fma_f64 v[40:41], v[40:41], s[10:11], v[45:46]
	;; [unrolled: 1-line block ×3, first 2 shown]
	v_mul_f64 v[22:23], v[20:21], s[10:11]
	v_mul_f64 v[20:21], v[20:21], 0.5
	s_delay_alu instid0(VALU_DEP_4) | instskip(SKIP_1) | instid1(VALU_DEP_4)
	v_mul_f64 v[38:39], v[40:41], s[10:11]
	v_mul_f64 v[40:41], v[40:41], -0.5
	v_fma_f64 v[36:37], v[34:35], 0.5, v[22:23]
	s_delay_alu instid0(VALU_DEP_4)
	v_fma_f64 v[55:56], v[34:35], s[2:3], v[20:21]
	v_fma_f64 v[34:35], v[49:50], s[10:11], v[26:27]
	;; [unrolled: 1-line block ×3, first 2 shown]
	v_fma_f64 v[49:50], v[42:43], -0.5, v[38:39]
	v_fma_f64 v[42:43], v[42:43], s[2:3], v[40:41]
	v_add_f64 v[22:23], v[57:58], v[55:56]
	v_add_f64 v[20:21], v[34:35], v[36:37]
	v_add_f64 v[34:35], v[34:35], -v[36:37]
	v_add_f64 v[38:39], v[26:27], v[49:50]
	v_add_f64 v[40:41], v[45:46], v[42:43]
	v_add_f64 v[51:52], v[45:46], -v[42:43]
	scratch_load_b32 v42, off, off offset:376 ; 4-byte Folded Reload
	v_add_f64 v[36:37], v[57:58], -v[55:56]
	v_add_f64 v[49:50], v[26:27], -v[49:50]
	;; [unrolled: 1-line block ×3, first 2 shown]
	s_waitcnt vmcnt(0)
	ds_store_b128 v42, v[0:3]
	ds_store_b128 v42, v[20:23] offset:48
	v_add_f64 v[0:1], v[28:29], v[32:33]
	ds_store_b128 v42, v[38:41] offset:96
	ds_store_b128 v42, v[16:19] offset:144
	v_add_f64 v[2:3], v[30:31], v[24:25]
	v_add_f64 v[20:21], v[4:5], v[6:7]
	;; [unrolled: 1-line block ×3, first 2 shown]
	v_add_f64 v[18:19], v[30:31], -v[24:25]
	ds_store_b128 v42, v[34:37] offset:192
	ds_store_b128 v42, v[49:52] offset:240
	v_add_f64 v[22:23], v[28:29], -v[32:33]
	v_add_f64 v[34:35], v[6:7], -v[4:5]
	v_fma_f64 v[0:1], v[0:1], -0.5, v[14:15]
	v_fma_f64 v[2:3], v[2:3], -0.5, v[10:11]
	v_fma_f64 v[20:21], v[20:21], -0.5, v[240:241]
	v_fma_f64 v[16:17], v[16:17], -0.5, v[242:243]
	s_delay_alu instid0(VALU_DEP_4)
	v_fma_f64 v[36:37], v[18:19], s[2:3], v[0:1]
	v_fma_f64 v[38:39], v[18:19], s[10:11], v[0:1]
	;; [unrolled: 1-line block ×8, first 2 shown]
	v_mul_f64 v[16:17], v[36:37], s[10:11]
	v_mul_f64 v[22:23], v[36:37], 0.5
	v_mul_f64 v[34:35], v[38:39], s[10:11]
	v_mul_f64 v[36:37], v[38:39], -0.5
	s_delay_alu instid0(VALU_DEP_4) | instskip(NEXT) | instid1(VALU_DEP_4)
	v_fma_f64 v[16:17], v[40:41], 0.5, v[16:17]
	v_fma_f64 v[26:27], v[40:41], s[2:3], v[22:23]
	s_delay_alu instid0(VALU_DEP_4) | instskip(NEXT) | instid1(VALU_DEP_4)
	v_fma_f64 v[22:23], v[42:43], -0.5, v[34:35]
	v_fma_f64 v[34:35], v[42:43], s[2:3], v[36:37]
	s_delay_alu instid0(VALU_DEP_4) | instskip(NEXT) | instid1(VALU_DEP_4)
	v_add_f64 v[60:61], v[0:1], -v[16:17]
	v_add_f64 v[62:63], v[18:19], -v[26:27]
	s_delay_alu instid0(VALU_DEP_4) | instskip(NEXT) | instid1(VALU_DEP_4)
	v_add_f64 v[76:77], v[2:3], -v[22:23]
	v_add_f64 v[78:79], v[20:21], -v[34:35]
	s_and_saveexec_b32 s1, s0
	s_cbranch_execz .LBB0_25
; %bb.24:
	v_add_f64 v[6:7], v[6:7], v[240:241]
	v_add_f64 v[10:11], v[30:31], v[10:11]
	;; [unrolled: 1-line block ×7, first 2 shown]
	s_clause 0x1
	scratch_load_b32 v0, off, off offset:368
	scratch_load_b32 v1, off, off offset:280
	v_add_f64 v[28:29], v[8:9], v[12:13]
	v_add_f64 v[14:15], v[32:33], v[14:15]
	;; [unrolled: 1-line block ×5, first 2 shown]
	s_delay_alu instid0(VALU_DEP_4) | instskip(NEXT) | instid1(VALU_DEP_4)
	v_add_f64 v[12:13], v[28:29], v[14:15]
	v_add_f64 v[10:11], v[30:31], v[24:25]
	v_add_f64 v[16:17], v[28:29], -v[14:15]
	v_add_f64 v[14:15], v[30:31], -v[24:25]
	s_waitcnt vmcnt(1)
	v_mul_u32_u24_e32 v0, 18, v0
	s_waitcnt vmcnt(0)
	s_delay_alu instid0(VALU_DEP_1)
	v_add_lshl_u32 v0, v0, v1, 4
	ds_store_b128 v0, v[10:13]
	ds_store_b128 v0, v[6:9] offset:48
	ds_store_b128 v0, v[2:5] offset:96
	;; [unrolled: 1-line block ×5, first 2 shown]
.LBB0_25:
	s_or_b32 exec_lo, exec_lo, s1
	s_waitcnt lgkmcnt(0)
	s_barrier
	buffer_gl0_inv
	ds_load_b128 v[0:3], v44 offset:864
	ds_load_b128 v[4:7], v44
	scratch_load_b128 v[10:13], off, off offset:352 ; 16-byte Folded Reload
	s_mov_b32 s0, 0x667f3bcd
	s_mov_b32 s1, 0xbfe6a09e
	;; [unrolled: 1-line block ×12, first 2 shown]
	s_waitcnt vmcnt(0) lgkmcnt(1)
	v_mul_f64 v[8:9], v[12:13], v[2:3]
	s_delay_alu instid0(VALU_DEP_1) | instskip(SKIP_1) | instid1(VALU_DEP_1)
	v_fma_f64 v[24:25], v[10:11], v[0:1], v[8:9]
	v_mul_f64 v[0:1], v[12:13], v[0:1]
	v_fma_f64 v[26:27], v[10:11], v[2:3], -v[0:1]
	ds_load_b128 v[0:3], v44 offset:1728
	ds_load_b128 v[8:11], v44 offset:2592
	scratch_load_b128 v[14:17], off, off offset:336 ; 16-byte Folded Reload
	s_waitcnt vmcnt(0) lgkmcnt(1)
	v_mul_f64 v[12:13], v[16:17], v[2:3]
	s_delay_alu instid0(VALU_DEP_1) | instskip(SKIP_1) | instid1(VALU_DEP_1)
	v_fma_f64 v[28:29], v[14:15], v[0:1], v[12:13]
	v_mul_f64 v[0:1], v[16:17], v[0:1]
	v_fma_f64 v[30:31], v[14:15], v[2:3], -v[0:1]
	scratch_load_b128 v[12:15], off, off offset:320 ; 16-byte Folded Reload
	s_waitcnt vmcnt(0) lgkmcnt(0)
	v_mul_f64 v[0:1], v[14:15], v[10:11]
	s_delay_alu instid0(VALU_DEP_1) | instskip(SKIP_1) | instid1(VALU_DEP_1)
	v_fma_f64 v[32:33], v[12:13], v[8:9], v[0:1]
	v_mul_f64 v[0:1], v[14:15], v[8:9]
	v_fma_f64 v[34:35], v[12:13], v[10:11], -v[0:1]
	ds_load_b128 v[0:3], v44 offset:3456
	ds_load_b128 v[8:11], v44 offset:4320
	s_waitcnt lgkmcnt(1)
	v_mul_f64 v[12:13], v[122:123], v[2:3]
	s_delay_alu instid0(VALU_DEP_1) | instskip(SKIP_1) | instid1(VALU_DEP_1)
	v_fma_f64 v[36:37], v[120:121], v[0:1], v[12:13]
	v_mul_f64 v[0:1], v[122:123], v[0:1]
	v_fma_f64 v[38:39], v[120:121], v[2:3], -v[0:1]
	s_waitcnt lgkmcnt(0)
	v_mul_f64 v[0:1], v[158:159], v[10:11]
	s_delay_alu instid0(VALU_DEP_1) | instskip(SKIP_1) | instid1(VALU_DEP_1)
	v_fma_f64 v[40:41], v[156:157], v[8:9], v[0:1]
	v_mul_f64 v[0:1], v[158:159], v[8:9]
	v_fma_f64 v[42:43], v[156:157], v[10:11], -v[0:1]
	ds_load_b128 v[0:3], v44 offset:5184
	ds_load_b128 v[8:11], v44 offset:6048
	s_waitcnt lgkmcnt(1)
	v_mul_f64 v[12:13], v[142:143], v[2:3]
	s_delay_alu instid0(VALU_DEP_1) | instskip(SKIP_1) | instid1(VALU_DEP_1)
	v_fma_f64 v[45:46], v[140:141], v[0:1], v[12:13]
	v_mul_f64 v[0:1], v[142:143], v[0:1]
	v_fma_f64 v[49:50], v[140:141], v[2:3], -v[0:1]
	s_waitcnt lgkmcnt(0)
	v_mul_f64 v[0:1], v[162:163], v[10:11]
	s_delay_alu instid0(VALU_DEP_1) | instskip(SKIP_1) | instid1(VALU_DEP_1)
	v_fma_f64 v[51:52], v[160:161], v[8:9], v[0:1]
	v_mul_f64 v[0:1], v[162:163], v[8:9]
	v_fma_f64 v[53:54], v[160:161], v[10:11], -v[0:1]
	ds_load_b128 v[0:3], v44 offset:6912
	ds_load_b128 v[8:11], v44 offset:7776
	s_waitcnt lgkmcnt(1)
	v_mul_f64 v[12:13], v[146:147], v[2:3]
	s_delay_alu instid0(VALU_DEP_1) | instskip(SKIP_1) | instid1(VALU_DEP_1)
	v_fma_f64 v[55:56], v[144:145], v[0:1], v[12:13]
	v_mul_f64 v[0:1], v[146:147], v[0:1]
	v_fma_f64 v[57:58], v[144:145], v[2:3], -v[0:1]
	ds_load_b128 v[0:3], v44 offset:10368
	ds_load_b128 v[12:15], v44 offset:11232
	s_waitcnt lgkmcnt(1)
	v_mul_f64 v[16:17], v[166:167], v[2:3]
	s_delay_alu instid0(VALU_DEP_1) | instskip(SKIP_1) | instid1(VALU_DEP_2)
	v_fma_f64 v[64:65], v[164:165], v[0:1], v[16:17]
	v_mul_f64 v[0:1], v[166:167], v[0:1]
	v_add_f64 v[64:65], v[36:37], -v[64:65]
	s_delay_alu instid0(VALU_DEP_2)
	v_fma_f64 v[66:67], v[164:165], v[2:3], -v[0:1]
	ds_load_b128 v[0:3], v44 offset:8640
	ds_load_b128 v[16:19], v44 offset:9504
	s_waitcnt lgkmcnt(1)
	v_mul_f64 v[20:21], v[170:171], v[2:3]
	v_add_f64 v[66:67], v[38:39], -v[66:67]
	s_delay_alu instid0(VALU_DEP_2) | instskip(SKIP_1) | instid1(VALU_DEP_2)
	v_fma_f64 v[68:69], v[168:169], v[0:1], v[20:21]
	v_mul_f64 v[0:1], v[170:171], v[0:1]
	v_add_f64 v[68:69], v[28:29], -v[68:69]
	s_delay_alu instid0(VALU_DEP_2)
	v_fma_f64 v[70:71], v[168:169], v[2:3], -v[0:1]
	ds_load_b128 v[0:3], v44 offset:12096
	ds_load_b128 v[20:23], v44 offset:12960
	s_waitcnt lgkmcnt(0)
	s_barrier
	buffer_gl0_inv
	v_mul_f64 v[72:73], v[174:175], v[2:3]
	v_add_f64 v[70:71], v[30:31], -v[70:71]
	s_delay_alu instid0(VALU_DEP_2) | instskip(SKIP_1) | instid1(VALU_DEP_2)
	v_fma_f64 v[72:73], v[172:173], v[0:1], v[72:73]
	v_mul_f64 v[0:1], v[174:175], v[0:1]
	v_add_f64 v[72:73], v[45:46], -v[72:73]
	s_delay_alu instid0(VALU_DEP_2) | instskip(SKIP_1) | instid1(VALU_DEP_2)
	v_fma_f64 v[0:1], v[172:173], v[2:3], -v[0:1]
	v_mul_f64 v[2:3], v[150:151], v[10:11]
	v_add_f64 v[80:81], v[49:50], -v[0:1]
	s_delay_alu instid0(VALU_DEP_2) | instskip(SKIP_2) | instid1(VALU_DEP_3)
	v_fma_f64 v[2:3], v[148:149], v[8:9], v[2:3]
	v_mul_f64 v[8:9], v[150:151], v[8:9]
	v_fma_f64 v[0:1], v[36:37], 2.0, -v[64:65]
	v_add_f64 v[82:83], v[24:25], -v[2:3]
	s_delay_alu instid0(VALU_DEP_3) | instskip(SKIP_2) | instid1(VALU_DEP_4)
	v_fma_f64 v[8:9], v[148:149], v[10:11], -v[8:9]
	v_mul_f64 v[10:11], v[154:155], v[14:15]
	v_fma_f64 v[2:3], v[38:39], 2.0, -v[66:67]
	v_fma_f64 v[24:25], v[24:25], 2.0, -v[82:83]
	s_delay_alu instid0(VALU_DEP_4) | instskip(NEXT) | instid1(VALU_DEP_4)
	v_add_f64 v[84:85], v[26:27], -v[8:9]
	v_fma_f64 v[10:11], v[152:153], v[12:13], v[10:11]
	v_mul_f64 v[12:13], v[154:155], v[12:13]
	s_delay_alu instid0(VALU_DEP_3) | instskip(NEXT) | instid1(VALU_DEP_3)
	v_fma_f64 v[26:27], v[26:27], 2.0, -v[84:85]
	v_add_f64 v[8:9], v[40:41], -v[10:11]
	s_delay_alu instid0(VALU_DEP_3) | instskip(SKIP_1) | instid1(VALU_DEP_3)
	v_fma_f64 v[12:13], v[152:153], v[14:15], -v[12:13]
	v_mul_f64 v[14:15], v[138:139], v[18:19]
	v_add_f64 v[98:99], v[84:85], -v[8:9]
	s_delay_alu instid0(VALU_DEP_3) | instskip(NEXT) | instid1(VALU_DEP_3)
	v_add_f64 v[10:11], v[42:43], -v[12:13]
	v_fma_f64 v[14:15], v[136:137], v[16:17], v[14:15]
	v_mul_f64 v[16:17], v[138:139], v[16:17]
	s_delay_alu instid0(VALU_DEP_3) | instskip(NEXT) | instid1(VALU_DEP_3)
	v_fma_f64 v[36:37], v[42:43], 2.0, -v[10:11]
	v_add_f64 v[12:13], v[32:33], -v[14:15]
	s_delay_alu instid0(VALU_DEP_3)
	v_fma_f64 v[16:17], v[136:137], v[18:19], -v[16:17]
	v_mul_f64 v[18:19], v[178:179], v[20:21]
	v_add_f64 v[96:97], v[82:83], v[10:11]
	v_add_f64 v[36:37], v[26:27], -v[36:37]
	v_fma_f64 v[32:33], v[32:33], 2.0, -v[12:13]
	v_add_f64 v[14:15], v[34:35], -v[16:17]
	v_fma_f64 v[18:19], v[176:177], v[22:23], -v[18:19]
	v_mul_f64 v[22:23], v[178:179], v[22:23]
	v_fma_f64 v[82:83], v[82:83], 2.0, -v[96:97]
	s_delay_alu instid0(VALU_DEP_4) | instskip(NEXT) | instid1(VALU_DEP_4)
	v_fma_f64 v[34:35], v[34:35], 2.0, -v[14:15]
	v_add_f64 v[16:17], v[53:54], -v[18:19]
	s_delay_alu instid0(VALU_DEP_4) | instskip(SKIP_2) | instid1(VALU_DEP_4)
	v_fma_f64 v[20:21], v[176:177], v[20:21], v[22:23]
	v_add_f64 v[22:23], v[4:5], -v[55:56]
	v_add_f64 v[55:56], v[6:7], -v[57:58]
	v_fma_f64 v[38:39], v[53:54], 2.0, -v[16:17]
	s_delay_alu instid0(VALU_DEP_4) | instskip(NEXT) | instid1(VALU_DEP_4)
	v_add_f64 v[18:19], v[51:52], -v[20:21]
	v_fma_f64 v[57:58], v[4:5], 2.0, -v[22:23]
	s_delay_alu instid0(VALU_DEP_4)
	v_fma_f64 v[74:75], v[6:7], 2.0, -v[55:56]
	v_fma_f64 v[20:21], v[28:29], 2.0, -v[68:69]
	;; [unrolled: 1-line block ×6, first 2 shown]
	v_add_f64 v[80:81], v[68:69], v[80:81]
	v_add_f64 v[72:73], v[70:71], -v[72:73]
	v_add_f64 v[16:17], v[12:13], v[16:17]
	v_add_f64 v[38:39], v[34:35], -v[38:39]
	v_fma_f64 v[40:41], v[51:52], 2.0, -v[18:19]
	v_add_f64 v[42:43], v[57:58], -v[0:1]
	v_add_f64 v[45:46], v[74:75], -v[2:3]
	v_add_f64 v[18:19], v[14:15], -v[18:19]
	v_add_f64 v[49:50], v[20:21], -v[4:5]
	v_add_f64 v[30:31], v[24:25], -v[30:31]
	v_add_f64 v[51:52], v[28:29], -v[6:7]
	v_fma_f64 v[12:13], v[12:13], 2.0, -v[16:17]
	v_add_f64 v[40:41], v[32:33], -v[40:41]
	v_fma_f64 v[10:11], v[18:19], s[2:3], v[98:99]
	v_fma_f64 v[14:15], v[14:15], 2.0, -v[18:19]
	v_add_f64 v[86:87], v[45:46], -v[49:50]
	v_add_f64 v[4:5], v[30:31], v[38:39]
	v_add_f64 v[53:54], v[42:43], v[51:52]
	v_add_f64 v[6:7], v[36:37], -v[40:41]
	v_fma_f64 v[10:11], v[16:17], s[0:1], v[10:11]
	v_fma_f64 v[92:93], v[45:46], 2.0, -v[86:87]
	v_fma_f64 v[88:89], v[30:31], 2.0, -v[4:5]
	v_fma_f64 v[0:1], v[4:5], s[2:3], v[53:54]
	v_fma_f64 v[90:91], v[42:43], 2.0, -v[53:54]
	v_fma_f64 v[42:43], v[57:58], 2.0, -v[42:43]
	;; [unrolled: 1-line block ×3, first 2 shown]
	v_fma_f64 v[2:3], v[6:7], s[2:3], v[86:87]
	v_fma_f64 v[0:1], v[6:7], s[2:3], v[0:1]
	s_delay_alu instid0(VALU_DEP_2) | instskip(SKIP_3) | instid1(VALU_DEP_3)
	v_fma_f64 v[2:3], v[4:5], s[0:1], v[2:3]
	v_fma_f64 v[4:5], v[36:37], 2.0, -v[6:7]
	v_fma_f64 v[6:7], v[88:89], s[0:1], v[90:91]
	v_fma_f64 v[36:37], v[26:27], 2.0, -v[36:37]
	v_fma_f64 v[94:95], v[4:5], s[0:1], v[92:93]
	s_delay_alu instid0(VALU_DEP_3) | instskip(NEXT) | instid1(VALU_DEP_2)
	v_fma_f64 v[4:5], v[4:5], s[2:3], v[6:7]
	v_fma_f64 v[6:7], v[88:89], s[0:1], v[94:95]
	v_add_f64 v[88:89], v[22:23], v[66:67]
	v_add_f64 v[94:95], v[55:56], -v[64:65]
	s_delay_alu instid0(VALU_DEP_2) | instskip(NEXT) | instid1(VALU_DEP_2)
	v_fma_f64 v[8:9], v[80:81], s[2:3], v[88:89]
	v_fma_f64 v[55:56], v[55:56], 2.0, -v[94:95]
	s_delay_alu instid0(VALU_DEP_2) | instskip(SKIP_1) | instid1(VALU_DEP_2)
	v_fma_f64 v[100:101], v[72:73], s[2:3], v[8:9]
	v_fma_f64 v[8:9], v[72:73], s[2:3], v[94:95]
	v_fma_f64 v[106:107], v[88:89], 2.0, -v[100:101]
	s_delay_alu instid0(VALU_DEP_2)
	v_fma_f64 v[102:103], v[80:81], s[0:1], v[8:9]
	v_fma_f64 v[8:9], v[16:17], s[2:3], v[96:97]
	v_fma_f64 v[16:17], v[68:69], 2.0, -v[80:81]
	v_fma_f64 v[68:69], v[84:85], 2.0, -v[98:99]
	;; [unrolled: 1-line block ×4, first 2 shown]
	v_fma_f64 v[66:67], v[10:11], s[16:17], v[102:103]
	v_fma_f64 v[8:9], v[18:19], s[2:3], v[8:9]
	;; [unrolled: 1-line block ×3, first 2 shown]
	v_fma_f64 v[108:109], v[94:95], 2.0, -v[102:103]
	s_delay_alu instid0(VALU_DEP_3) | instskip(NEXT) | instid1(VALU_DEP_3)
	v_fma_f64 v[64:65], v[8:9], s[16:17], v[100:101]
	v_fma_f64 v[70:71], v[14:15], s[2:3], v[18:19]
	v_fma_f64 v[14:15], v[14:15], s[0:1], v[68:69]
	v_fma_f64 v[18:19], v[28:29], 2.0, -v[51:52]
	v_fma_f64 v[66:67], v[8:9], s[14:15], v[66:67]
	v_fma_f64 v[104:105], v[96:97], 2.0, -v[8:9]
	v_fma_f64 v[8:9], v[98:99], 2.0, -v[10:11]
	v_fma_f64 v[64:65], v[10:11], s[12:13], v[64:65]
	v_fma_f64 v[72:73], v[12:13], s[0:1], v[14:15]
	;; [unrolled: 1-line block ×5, first 2 shown]
	v_fma_f64 v[28:29], v[100:101], 2.0, -v[64:65]
	s_delay_alu instid0(VALU_DEP_4)
	v_fma_f64 v[80:81], v[16:17], s[0:1], v[12:13]
	v_fma_f64 v[12:13], v[16:17], s[0:1], v[88:89]
	v_fma_f64 v[16:17], v[20:21], 2.0, -v[49:50]
	v_fma_f64 v[49:50], v[24:25], 2.0, -v[30:31]
	;; [unrolled: 1-line block ×3, first 2 shown]
	v_add_f64 v[34:35], v[45:46], -v[18:19]
	v_fma_f64 v[8:9], v[8:9], s[16:17], v[10:11]
	v_fma_f64 v[10:11], v[104:105], s[10:11], v[110:111]
	v_fma_f64 v[30:31], v[102:103], 2.0, -v[66:67]
	v_fma_f64 v[55:56], v[55:56], 2.0, -v[80:81]
	v_fma_f64 v[84:85], v[22:23], s[2:3], v[12:13]
	v_fma_f64 v[22:23], v[32:33], 2.0, -v[40:41]
	v_add_f64 v[32:33], v[42:43], -v[16:17]
	v_add_f64 v[38:39], v[36:37], -v[20:21]
	v_fma_f64 v[12:13], v[72:73], s[12:13], v[80:81]
	v_fma_f64 v[24:25], v[70:71], s[12:13], v[84:85]
	v_add_f64 v[40:41], v[49:50], -v[22:23]
	v_fma_f64 v[51:52], v[88:89], 2.0, -v[84:85]
	v_add_f64 v[16:17], v[32:33], v[38:39]
	v_fma_f64 v[14:15], v[70:71], s[10:11], v[12:13]
	v_fma_f64 v[12:13], v[72:73], s[16:17], v[24:25]
	v_add_f64 v[18:19], v[34:35], -v[40:41]
	s_delay_alu instid0(VALU_DEP_4) | instskip(NEXT) | instid1(VALU_DEP_2)
	v_fma_f64 v[20:21], v[32:33], 2.0, -v[16:17]
	v_fma_f64 v[22:23], v[34:35], 2.0, -v[18:19]
	ds_store_b128 v48, v[16:19] offset:3456
	v_fma_f64 v[18:19], v[82:83], 2.0, -v[70:71]
	v_fma_f64 v[16:17], v[68:69], 2.0, -v[72:73]
	s_delay_alu instid0(VALU_DEP_2) | instskip(NEXT) | instid1(VALU_DEP_2)
	v_fma_f64 v[24:25], v[18:19], s[10:11], v[51:52]
	v_fma_f64 v[26:27], v[16:17], s[10:11], v[55:56]
	s_delay_alu instid0(VALU_DEP_2) | instskip(NEXT) | instid1(VALU_DEP_2)
	v_fma_f64 v[16:17], v[16:17], s[12:13], v[24:25]
	v_fma_f64 v[18:19], v[18:19], s[14:15], v[26:27]
	v_fma_f64 v[24:25], v[53:54], 2.0, -v[0:1]
	v_fma_f64 v[26:27], v[86:87], 2.0, -v[2:3]
	ds_store_b128 v48, v[24:27] offset:1728
	ds_store_b128 v48, v[28:31] offset:2016
	ds_store_b128 v48, v[4:7] offset:2880
	ds_store_b128 v48, v[8:11] offset:3168
	ds_store_b128 v48, v[0:3] offset:4032
	v_fma_f64 v[28:29], v[42:43], 2.0, -v[32:33]
	v_fma_f64 v[30:31], v[45:46], 2.0, -v[34:35]
	;; [unrolled: 1-line block ×12, first 2 shown]
	v_add_f64 v[0:1], v[28:29], -v[0:1]
	v_add_f64 v[2:3], v[30:31], -v[2:3]
	s_delay_alu instid0(VALU_DEP_2) | instskip(NEXT) | instid1(VALU_DEP_2)
	v_fma_f64 v[28:29], v[28:29], 2.0, -v[0:1]
	v_fma_f64 v[30:31], v[30:31], 2.0, -v[2:3]
	ds_store_b128 v48, v[64:67] offset:4320
	ds_store_b128 v48, v[12:15] offset:3744
	;; [unrolled: 1-line block ×8, first 2 shown]
	ds_store_b128 v48, v[28:31]
	ds_store_b128 v48, v[32:35] offset:288
	s_waitcnt lgkmcnt(0)
	s_barrier
	buffer_gl0_inv
	ds_load_b128 v[4:7], v44
	ds_load_b128 v[0:3], v44 offset:864
	ds_load_b128 v[32:35], v44 offset:9216
	;; [unrolled: 1-line block ×14, first 2 shown]
	s_and_saveexec_b32 s0, vcc_lo
	s_cbranch_execz .LBB0_27
; %bb.26:
	ds_load_b128 v[64:67], v44 offset:4320
	ds_load_b128 v[60:63], v44 offset:8928
	;; [unrolled: 1-line block ×3, first 2 shown]
.LBB0_27:
	s_or_b32 exec_lo, exec_lo, s0
	s_waitcnt lgkmcnt(4)
	v_mul_f64 v[45:46], v[190:191], v[86:87]
	v_mul_f64 v[47:48], v[194:195], v[34:35]
	;; [unrolled: 1-line block ×12, first 2 shown]
	s_waitcnt lgkmcnt(2)
	v_mul_f64 v[98:99], v[214:215], v[82:83]
	v_mul_f64 v[100:101], v[218:219], v[30:31]
	v_mul_f64 v[102:103], v[214:215], v[80:81]
	v_mul_f64 v[104:105], v[218:219], v[28:29]
	s_waitcnt lgkmcnt(1)
	v_mul_f64 v[106:107], v[222:223], v[42:43]
	s_waitcnt lgkmcnt(0)
	v_mul_f64 v[108:109], v[226:227], v[70:71]
	v_mul_f64 v[110:111], v[222:223], v[40:41]
	;; [unrolled: 1-line block ×3, first 2 shown]
	s_mov_b32 s0, 0xe8584caa
	s_mov_b32 s1, 0xbfebb67a
	;; [unrolled: 1-line block ×4, first 2 shown]
	v_fma_f64 v[45:46], v[188:189], v[84:85], v[45:46]
	v_fma_f64 v[32:33], v[192:193], v[32:33], v[47:48]
	v_fma_f64 v[47:48], v[188:189], v[86:87], -v[49:50]
	v_fma_f64 v[34:35], v[192:193], v[34:35], -v[51:52]
	v_fma_f64 v[36:37], v[196:197], v[36:37], v[53:54]
	v_fma_f64 v[20:21], v[200:201], v[20:21], v[55:56]
	v_fma_f64 v[38:39], v[196:197], v[38:39], -v[57:58]
	v_fma_f64 v[22:23], v[200:201], v[22:23], -v[88:89]
	v_fma_f64 v[24:25], v[204:205], v[24:25], v[90:91]
	v_fma_f64 v[49:50], v[208:209], v[72:73], v[92:93]
	v_fma_f64 v[26:27], v[204:205], v[26:27], -v[94:95]
	v_fma_f64 v[51:52], v[208:209], v[74:75], -v[96:97]
	v_fma_f64 v[53:54], v[212:213], v[80:81], v[98:99]
	v_fma_f64 v[28:29], v[216:217], v[28:29], v[100:101]
	v_fma_f64 v[55:56], v[212:213], v[82:83], -v[102:103]
	v_fma_f64 v[30:31], v[216:217], v[30:31], -v[104:105]
	v_fma_f64 v[40:41], v[220:221], v[40:41], v[106:107]
	v_fma_f64 v[57:58], v[224:225], v[68:69], v[108:109]
	v_fma_f64 v[42:43], v[220:221], v[42:43], -v[110:111]
	v_fma_f64 v[68:69], v[224:225], v[70:71], -v[112:113]
	v_add_f64 v[94:95], v[4:5], v[45:46]
	v_add_f64 v[70:71], v[45:46], v[32:33]
	v_add_f64 v[45:46], v[45:46], -v[32:33]
	v_add_f64 v[72:73], v[47:48], v[34:35]
	v_add_f64 v[96:97], v[47:48], -v[34:35]
	v_add_f64 v[74:75], v[36:37], v[20:21]
	v_add_f64 v[47:48], v[6:7], v[47:48]
	;; [unrolled: 1-line block ×15, first 2 shown]
	v_add_f64 v[38:39], v[38:39], -v[22:23]
	v_add_f64 v[36:37], v[36:37], -v[20:21]
	;; [unrolled: 1-line block ×6, first 2 shown]
	v_add_f64 v[110:111], v[12:13], v[40:41]
	v_add_f64 v[112:113], v[14:15], v[42:43]
	v_add_f64 v[120:121], v[42:43], -v[68:69]
	v_add_f64 v[122:123], v[40:41], -v[57:58]
	v_fma_f64 v[70:71], v[70:71], -0.5, v[4:5]
	v_fma_f64 v[72:73], v[72:73], -0.5, v[6:7]
	;; [unrolled: 1-line block ×3, first 2 shown]
	v_add_f64 v[0:1], v[94:95], v[32:33]
	v_fma_f64 v[80:81], v[80:81], -0.5, v[2:3]
	v_add_f64 v[2:3], v[47:48], v[34:35]
	v_fma_f64 v[82:83], v[82:83], -0.5, v[16:17]
	;; [unrolled: 2-line block ×7, first 2 shown]
	v_add_f64 v[14:15], v[108:109], v[30:31]
	v_add_f64 v[16:17], v[110:111], v[57:58]
	;; [unrolled: 1-line block ×3, first 2 shown]
	v_fma_f64 v[24:25], v[96:97], s[2:3], v[70:71]
	v_fma_f64 v[20:21], v[96:97], s[0:1], v[70:71]
	;; [unrolled: 1-line block ×20, first 2 shown]
	ds_store_b128 v44, v[0:3]
	ds_store_b128 v44, v[4:7] offset:864
	ds_store_b128 v44, v[8:11] offset:1728
	;; [unrolled: 1-line block ×14, first 2 shown]
	s_and_saveexec_b32 s10, vcc_lo
	s_cbranch_execz .LBB0_29
; %bb.28:
	s_clause 0x1
	scratch_load_b128 v[8:11], off, off offset:384
	scratch_load_b128 v[12:15], off, off offset:400
	s_waitcnt vmcnt(1)
	v_mul_f64 v[0:1], v[10:11], v[60:61]
	s_waitcnt vmcnt(0)
	v_mul_f64 v[2:3], v[14:15], v[76:77]
	v_mul_f64 v[4:5], v[10:11], v[62:63]
	;; [unrolled: 1-line block ×3, first 2 shown]
	s_delay_alu instid0(VALU_DEP_4) | instskip(NEXT) | instid1(VALU_DEP_4)
	v_fma_f64 v[0:1], v[8:9], v[62:63], -v[0:1]
	v_fma_f64 v[2:3], v[12:13], v[78:79], -v[2:3]
	s_delay_alu instid0(VALU_DEP_4) | instskip(NEXT) | instid1(VALU_DEP_4)
	v_fma_f64 v[4:5], v[8:9], v[60:61], v[4:5]
	v_fma_f64 v[6:7], v[12:13], v[76:77], v[6:7]
	s_delay_alu instid0(VALU_DEP_4) | instskip(NEXT) | instid1(VALU_DEP_4)
	v_add_f64 v[14:15], v[66:67], v[0:1]
	v_add_f64 v[8:9], v[0:1], v[2:3]
	v_add_f64 v[16:17], v[0:1], -v[2:3]
	s_delay_alu instid0(VALU_DEP_4)
	v_add_f64 v[10:11], v[4:5], v[6:7]
	v_add_f64 v[12:13], v[4:5], -v[6:7]
	v_add_f64 v[4:5], v[64:65], v[4:5]
	v_add_f64 v[2:3], v[14:15], v[2:3]
	v_fma_f64 v[8:9], v[8:9], -0.5, v[66:67]
	v_fma_f64 v[18:19], v[10:11], -0.5, v[64:65]
	s_delay_alu instid0(VALU_DEP_4) | instskip(NEXT) | instid1(VALU_DEP_3)
	v_add_f64 v[0:1], v[4:5], v[6:7]
	v_fma_f64 v[6:7], v[12:13], s[0:1], v[8:9]
	v_fma_f64 v[10:11], v[12:13], s[2:3], v[8:9]
	s_delay_alu instid0(VALU_DEP_4)
	v_fma_f64 v[8:9], v[16:17], s[0:1], v[18:19]
	v_fma_f64 v[4:5], v[16:17], s[2:3], v[18:19]
	ds_store_b128 v44, v[0:3] offset:4320
	ds_store_b128 v44, v[8:11] offset:8928
	;; [unrolled: 1-line block ×3, first 2 shown]
.LBB0_29:
	s_or_b32 exec_lo, exec_lo, s10
	s_waitcnt lgkmcnt(0)
	s_barrier
	buffer_gl0_inv
	ds_load_b128 v[0:3], v44
	ds_load_b128 v[4:7], v44 offset:4608
	ds_load_b128 v[8:11], v44 offset:9216
	;; [unrolled: 1-line block ×5, first 2 shown]
	s_clause 0x5
	scratch_load_b128 v[90:93], off, off offset:16
	scratch_load_b32 v89, off, off offset:12
	scratch_load_b64 v[24:25], off, off offset:4
	scratch_load_b128 v[100:103], off, off offset:264
	scratch_load_b32 v88, off, off
	scratch_load_b128 v[96:99], off, off offset:168
	s_mul_i32 s1, s5, 0x120
	s_mul_i32 s0, s4, 0x120
	s_mov_b32 s2, 0xbda12f68
	s_mov_b32 s3, 0x3f52f684
	s_mul_i32 s12, s5, 0xfffff160
	s_waitcnt vmcnt(5) lgkmcnt(5)
	v_mul_f64 v[62:63], v[92:93], v[2:3]
	v_mul_f64 v[64:65], v[92:93], v[0:1]
	scratch_load_b128 v[92:95], off, off offset:32 ; 16-byte Folded Reload
	s_waitcnt vmcnt(4)
	v_mov_b32_e32 v87, v24
	ds_load_b128 v[24:27], v44 offset:5472
	ds_load_b128 v[28:31], v44 offset:6336
	ds_load_b128 v[32:35], v44 offset:1728
	ds_load_b128 v[36:39], v44 offset:2592
	ds_load_b128 v[40:43], v44 offset:10944
	ds_load_b128 v[46:49], v44 offset:11808
	ds_load_b128 v[50:53], v44 offset:7200
	ds_load_b128 v[54:57], v44 offset:8064
	scratch_load_b128 v[111:114], off, off offset:200 ; 16-byte Folded Reload
	s_waitcnt vmcnt(4) lgkmcnt(12)
	v_mul_f64 v[66:67], v[102:103], v[6:7]
	v_mul_f64 v[68:69], v[102:103], v[4:5]
	v_mad_u64_u32 v[78:79], null, s6, v87, 0
	s_waitcnt vmcnt(3)
	v_mad_u64_u32 v[80:81], null, s4, v88, 0
	v_mad_u64_u32 v[82:83], null, s4, v89, 0
	s_waitcnt vmcnt(2) lgkmcnt(11)
	v_mul_f64 v[70:71], v[98:99], v[10:11]
	v_mul_f64 v[72:73], v[98:99], v[8:9]
	v_mov_b32_e32 v45, v79
	scratch_load_b128 v[133:136], off, off offset:216 ; 16-byte Folded Reload
	v_mov_b32_e32 v79, v81
	scratch_load_b128 v[127:130], off, off offset:152 ; 16-byte Folded Reload
	v_mov_b32_e32 v81, v83
	ds_load_b128 v[58:61], v44 offset:12672
	s_mul_hi_u32 s6, s4, 0x120
	scratch_load_b128 v[121:124], off, off offset:120 ; 16-byte Folded Reload
	s_add_i32 s1, s6, s1
	s_delay_alu instid0(SALU_CYCLE_1)
	s_lshl_b64 s[10:11], s[0:1], 4
	s_sub_i32 s1, s12, s4
	v_fma_f64 v[0:1], v[90:91], v[0:1], v[62:63]
	s_waitcnt lgkmcnt(3)
	v_mad_u64_u32 v[62:63], null, s7, v87, v[45:46]
	v_fma_f64 v[2:3], v[90:91], v[2:3], -v[64:65]
	v_mad_u64_u32 v[63:64], null, s5, v88, v[79:80]
	v_mad_u64_u32 v[64:65], null, s5, v89, v[81:82]
	v_fma_f64 v[4:5], v[100:101], v[4:5], v[66:67]
	v_fma_f64 v[6:7], v[100:101], v[6:7], -v[68:69]
	v_mov_b32_e32 v79, v62
	v_mov_b32_e32 v81, v63
	v_fma_f64 v[8:9], v[96:97], v[8:9], v[70:71]
	v_fma_f64 v[10:11], v[96:97], v[10:11], -v[72:73]
	v_mul_f64 v[0:1], v[0:1], s[2:3]
	v_mul_f64 v[2:3], v[2:3], s[2:3]
	;; [unrolled: 1-line block ×6, first 2 shown]
	s_waitcnt vmcnt(4)
	v_mul_f64 v[74:75], v[94:95], v[14:15]
	v_mul_f64 v[76:77], v[94:95], v[12:13]
	s_waitcnt vmcnt(3)
	v_mul_f64 v[65:66], v[113:114], v[18:19]
	v_mul_f64 v[67:68], v[113:114], v[16:17]
	scratch_load_b128 v[113:116], off, off offset:48 ; 16-byte Folded Reload
	s_waitcnt vmcnt(1) lgkmcnt(2)
	v_mul_f64 v[95:96], v[123:124], v[52:53]
	v_mul_f64 v[97:98], v[123:124], v[50:51]
	scratch_load_b128 v[123:126], off, off offset:136 ; 16-byte Folded Reload
	v_fma_f64 v[12:13], v[92:93], v[12:13], v[74:75]
	v_fma_f64 v[14:15], v[92:93], v[14:15], -v[76:77]
	v_lshlrev_b64 v[77:78], 4, v[78:79]
	v_lshlrev_b64 v[79:80], 4, v[80:81]
	s_delay_alu instid0(VALU_DEP_2)
	v_add_co_u32 v45, s0, s8, v77
	v_mul_f64 v[12:13], v[12:13], s[2:3]
	v_mul_f64 v[14:15], v[14:15], s[2:3]
	s_waitcnt vmcnt(1)
	v_mul_f64 v[69:70], v[115:116], v[34:35]
	v_mul_f64 v[71:72], v[115:116], v[32:33]
	scratch_load_b128 v[115:118], off, off offset:88 ; 16-byte Folded Reload
	s_waitcnt vmcnt(1)
	v_mul_f64 v[99:100], v[125:126], v[48:49]
	v_mul_f64 v[101:102], v[125:126], v[46:47]
	v_fma_f64 v[32:33], v[113:114], v[32:33], v[69:70]
	v_fma_f64 v[34:35], v[113:114], v[34:35], -v[71:72]
	s_waitcnt vmcnt(0)
	v_mul_f64 v[91:92], v[117:118], v[38:39]
	v_mul_f64 v[93:94], v[117:118], v[36:37]
	scratch_load_b128 v[117:120], off, off offset:104 ; 16-byte Folded Reload
	v_mul_f64 v[73:74], v[129:130], v[30:31]
	v_mul_f64 v[75:76], v[129:130], v[28:29]
	scratch_load_b128 v[129:132], off, off offset:184 ; 16-byte Folded Reload
	v_mul_f64 v[83:84], v[135:136], v[26:27]
	v_mul_f64 v[85:86], v[135:136], v[24:25]
	scratch_load_b128 v[135:138], off, off offset:232 ; 16-byte Folded Reload
	v_fma_f64 v[28:29], v[127:128], v[28:29], v[73:74]
	v_fma_f64 v[30:31], v[127:128], v[30:31], -v[75:76]
	v_fma_f64 v[24:25], v[133:134], v[24:25], v[83:84]
	v_fma_f64 v[26:27], v[133:134], v[26:27], -v[85:86]
	v_add_co_ci_u32_e64 v86, s0, s9, v78, s0
	v_mov_b32_e32 v83, v64
	v_fma_f64 v[64:65], v[111:112], v[16:17], v[65:66]
	v_fma_f64 v[66:67], v[111:112], v[18:19], -v[67:68]
	v_add_co_u32 v79, s0, v45, v79
	s_delay_alu instid0(VALU_DEP_1) | instskip(SKIP_1) | instid1(VALU_DEP_3)
	v_add_co_ci_u32_e64 v80, s0, v86, v80, s0
	v_lshlrev_b64 v[81:82], 4, v[82:83]
	v_add_co_u32 v84, s0, v79, s10
	s_delay_alu instid0(VALU_DEP_1) | instskip(NEXT) | instid1(VALU_DEP_3)
	v_add_co_ci_u32_e64 v85, s0, s11, v80, s0
	v_add_co_u32 v81, s0, v45, v81
	s_delay_alu instid0(VALU_DEP_2) | instskip(SKIP_3) | instid1(VALU_DEP_4)
	v_mad_u64_u32 v[111:112], null, 0xfffff160, s4, v[84:85]
	v_fma_f64 v[45:46], v[123:124], v[46:47], v[99:100]
	v_fma_f64 v[47:48], v[123:124], v[48:49], -v[101:102]
	v_add_co_ci_u32_e64 v82, s0, v86, v82, s0
	v_add_nc_u32_e32 v112, s1, v112
	v_add_co_u32 v68, s0, v111, s10
	s_mul_i32 s1, s5, 0xfffffdf6
	s_delay_alu instid0(VALU_DEP_2)
	v_add_co_ci_u32_e64 v69, s0, s11, v112, s0
	v_mul_f64 v[16:17], v[24:25], s[2:3]
	v_mul_f64 v[18:19], v[26:27], s[2:3]
	v_fma_f64 v[24:25], v[115:116], v[36:37], v[91:92]
	v_fma_f64 v[26:27], v[115:116], v[38:39], -v[93:94]
	v_fma_f64 v[36:37], v[121:122], v[50:51], v[95:96]
	v_fma_f64 v[38:39], v[121:122], v[52:53], -v[97:98]
	s_waitcnt vmcnt(2)
	v_mul_f64 v[103:104], v[119:120], v[22:23]
	v_mul_f64 v[105:106], v[119:120], v[20:21]
	s_waitcnt vmcnt(1)
	v_mul_f64 v[87:88], v[131:132], v[42:43]
	v_mul_f64 v[89:90], v[131:132], v[40:41]
	s_waitcnt vmcnt(0) lgkmcnt(1)
	v_mul_f64 v[62:63], v[137:138], v[56:57]
	v_mul_f64 v[107:108], v[137:138], v[54:55]
	scratch_load_b128 v[137:140], off, off offset:248 ; 16-byte Folded Reload
	s_clause 0x3
	global_store_b128 v[79:80], v[0:3], off
	global_store_b128 v[84:85], v[4:7], off
	;; [unrolled: 1-line block ×4, first 2 shown]
	v_mul_f64 v[0:1], v[64:65], s[2:3]
	v_mul_f64 v[2:3], v[66:67], s[2:3]
	;; [unrolled: 1-line block ×8, first 2 shown]
	global_store_b128 v[68:69], v[16:19], off
	v_fma_f64 v[49:50], v[117:118], v[20:21], v[103:104]
	v_fma_f64 v[51:52], v[117:118], v[22:23], -v[105:106]
	v_mul_f64 v[20:21], v[24:25], s[2:3]
	v_fma_f64 v[40:41], v[129:130], v[40:41], v[87:88]
	v_fma_f64 v[42:43], v[129:130], v[42:43], -v[89:90]
	v_mul_f64 v[22:23], v[26:27], s[2:3]
	;; [unrolled: 3-line block ×3, first 2 shown]
	v_mul_f64 v[26:27], v[38:39], s[2:3]
	v_mul_f64 v[32:33], v[49:50], s[2:3]
	;; [unrolled: 1-line block ×7, first 2 shown]
	s_waitcnt vmcnt(0) lgkmcnt(0)
	v_mul_f64 v[109:110], v[139:140], v[60:61]
	v_mul_f64 v[77:78], v[139:140], v[58:59]
	s_delay_alu instid0(VALU_DEP_2) | instskip(NEXT) | instid1(VALU_DEP_2)
	v_fma_f64 v[57:58], v[137:138], v[58:59], v[109:110]
	v_fma_f64 v[59:60], v[137:138], v[60:61], -v[77:78]
	v_add_co_u32 v61, s0, v68, s10
	s_delay_alu instid0(VALU_DEP_1) | instskip(SKIP_1) | instid1(SALU_CYCLE_1)
	v_add_co_ci_u32_e64 v62, s0, s11, v69, s0
	s_mul_hi_u32 s0, s4, 0xfffffdf6
	s_sub_i32 s0, s0, s4
	global_store_b128 v[61:62], v[0:3], off
	s_add_i32 s1, s0, s1
	s_mul_i32 s0, s4, 0xfffffdf6
	s_delay_alu instid0(SALU_CYCLE_1) | instskip(NEXT) | instid1(SALU_CYCLE_1)
	s_lshl_b64 s[4:5], s[0:1], 4
	v_add_co_u32 v63, s0, v61, s4
	s_delay_alu instid0(VALU_DEP_1) | instskip(NEXT) | instid1(VALU_DEP_2)
	v_add_co_ci_u32_e64 v64, s0, s5, v62, s0
	v_add_co_u32 v65, s0, v63, s10
	s_delay_alu instid0(VALU_DEP_1) | instskip(SKIP_2) | instid1(VALU_DEP_1)
	v_add_co_ci_u32_e64 v66, s0, s11, v64, s0
	global_store_b128 v[63:64], v[4:7], off
	v_add_co_u32 v45, s0, v65, s10
	v_add_co_ci_u32_e64 v46, s0, s11, v66, s0
	global_store_b128 v[65:66], v[8:11], off
	v_add_co_u32 v16, s0, v45, s4
	s_delay_alu instid0(VALU_DEP_1) | instskip(SKIP_2) | instid1(VALU_DEP_1)
	v_add_co_ci_u32_e64 v17, s0, s5, v46, s0
	global_store_b128 v[45:46], v[12:15], off
	v_add_co_u32 v2, s0, v16, s10
	v_add_co_ci_u32_e64 v3, s0, s11, v17, s0
	v_mul_f64 v[40:41], v[57:58], s[2:3]
	v_mul_f64 v[42:43], v[59:60], s[2:3]
	s_delay_alu instid0(VALU_DEP_4) | instskip(NEXT) | instid1(VALU_DEP_1)
	v_add_co_u32 v4, s0, v2, s10
	v_add_co_ci_u32_e64 v5, s0, s11, v3, s0
	global_store_b128 v[16:17], v[20:23], off
	v_add_co_u32 v6, s0, v4, s4
	s_delay_alu instid0(VALU_DEP_1) | instskip(NEXT) | instid1(VALU_DEP_2)
	v_add_co_ci_u32_e64 v7, s0, s5, v5, s0
	v_add_co_u32 v8, s0, v6, s10
	s_delay_alu instid0(VALU_DEP_1) | instskip(NEXT) | instid1(VALU_DEP_2)
	v_add_co_ci_u32_e64 v9, s0, s11, v7, s0
	v_add_co_u32 v0, s0, v8, s10
	s_delay_alu instid0(VALU_DEP_1)
	v_add_co_ci_u32_e64 v1, s0, s11, v9, s0
	global_store_b128 v[2:3], v[24:27], off
	global_store_b128 v[4:5], v[28:31], off
	;; [unrolled: 1-line block ×5, first 2 shown]
	s_and_b32 exec_lo, exec_lo, vcc_lo
	s_cbranch_execz .LBB0_31
; %bb.30:
	scratch_load_b64 v[2:3], off, off offset:80 ; 8-byte Folded Reload
	s_waitcnt vmcnt(0)
	global_load_b128 v[2:5], v[2:3], off offset:224
	ds_load_b128 v[6:9], v44 offset:4320
	ds_load_b128 v[10:13], v44 offset:8928
	s_waitcnt vmcnt(0) lgkmcnt(1)
	v_mul_f64 v[14:15], v[8:9], v[4:5]
	v_mul_f64 v[4:5], v[6:7], v[4:5]
	s_delay_alu instid0(VALU_DEP_2) | instskip(NEXT) | instid1(VALU_DEP_2)
	v_fma_f64 v[6:7], v[6:7], v[2:3], v[14:15]
	v_fma_f64 v[4:5], v[2:3], v[8:9], -v[4:5]
	s_delay_alu instid0(VALU_DEP_2)
	v_mul_f64 v[2:3], v[6:7], s[2:3]
	v_add_co_u32 v6, vcc_lo, v0, s4
	v_add_co_ci_u32_e32 v7, vcc_lo, s5, v1, vcc_lo
	scratch_load_b64 v[0:1], off, off offset:64 ; 8-byte Folded Reload
	v_mul_f64 v[4:5], v[4:5], s[2:3]
	v_add_co_u32 v8, vcc_lo, v6, s10
	v_add_co_ci_u32_e32 v9, vcc_lo, s11, v7, vcc_lo
	global_store_b128 v[6:7], v[2:5], off
	s_waitcnt vmcnt(0)
	global_load_b128 v[0:3], v[0:1], off offset:736
	s_waitcnt vmcnt(0) lgkmcnt(0)
	v_mul_f64 v[4:5], v[12:13], v[2:3]
	v_mul_f64 v[2:3], v[10:11], v[2:3]
	s_delay_alu instid0(VALU_DEP_2) | instskip(NEXT) | instid1(VALU_DEP_2)
	v_fma_f64 v[4:5], v[10:11], v[0:1], v[4:5]
	v_fma_f64 v[2:3], v[0:1], v[12:13], -v[2:3]
	s_delay_alu instid0(VALU_DEP_2) | instskip(NEXT) | instid1(VALU_DEP_2)
	v_mul_f64 v[0:1], v[4:5], s[2:3]
	v_mul_f64 v[2:3], v[2:3], s[2:3]
	ds_load_b128 v[4:7], v44 offset:13536
	global_store_b128 v[8:9], v[0:3], off
	scratch_load_b64 v[0:1], off, off offset:72 ; 8-byte Folded Reload
	s_waitcnt vmcnt(0)
	global_load_b128 v[0:3], v[0:1], off offset:1248
	s_waitcnt vmcnt(0) lgkmcnt(0)
	v_mul_f64 v[10:11], v[6:7], v[2:3]
	v_mul_f64 v[2:3], v[4:5], v[2:3]
	s_delay_alu instid0(VALU_DEP_2) | instskip(NEXT) | instid1(VALU_DEP_2)
	v_fma_f64 v[4:5], v[4:5], v[0:1], v[10:11]
	v_fma_f64 v[2:3], v[0:1], v[6:7], -v[2:3]
	s_delay_alu instid0(VALU_DEP_2) | instskip(NEXT) | instid1(VALU_DEP_2)
	v_mul_f64 v[0:1], v[4:5], s[2:3]
	v_mul_f64 v[2:3], v[2:3], s[2:3]
	v_add_co_u32 v4, vcc_lo, v8, s10
	v_add_co_ci_u32_e32 v5, vcc_lo, s11, v9, vcc_lo
	global_store_b128 v[4:5], v[0:3], off
.LBB0_31:
	s_nop 0
	s_sendmsg sendmsg(MSG_DEALLOC_VGPRS)
	s_endpgm
	.section	.rodata,"a",@progbits
	.p2align	6, 0x0
	.amdhsa_kernel bluestein_single_back_len864_dim1_dp_op_CI_CI
		.amdhsa_group_segment_fixed_size 13824
		.amdhsa_private_segment_fixed_size 420
		.amdhsa_kernarg_size 104
		.amdhsa_user_sgpr_count 15
		.amdhsa_user_sgpr_dispatch_ptr 0
		.amdhsa_user_sgpr_queue_ptr 0
		.amdhsa_user_sgpr_kernarg_segment_ptr 1
		.amdhsa_user_sgpr_dispatch_id 0
		.amdhsa_user_sgpr_private_segment_size 0
		.amdhsa_wavefront_size32 1
		.amdhsa_uses_dynamic_stack 0
		.amdhsa_enable_private_segment 1
		.amdhsa_system_sgpr_workgroup_id_x 1
		.amdhsa_system_sgpr_workgroup_id_y 0
		.amdhsa_system_sgpr_workgroup_id_z 0
		.amdhsa_system_sgpr_workgroup_info 0
		.amdhsa_system_vgpr_workitem_id 0
		.amdhsa_next_free_vgpr 256
		.amdhsa_next_free_sgpr 24
		.amdhsa_reserve_vcc 1
		.amdhsa_float_round_mode_32 0
		.amdhsa_float_round_mode_16_64 0
		.amdhsa_float_denorm_mode_32 3
		.amdhsa_float_denorm_mode_16_64 3
		.amdhsa_dx10_clamp 1
		.amdhsa_ieee_mode 1
		.amdhsa_fp16_overflow 0
		.amdhsa_workgroup_processor_mode 1
		.amdhsa_memory_ordered 1
		.amdhsa_forward_progress 0
		.amdhsa_shared_vgpr_count 0
		.amdhsa_exception_fp_ieee_invalid_op 0
		.amdhsa_exception_fp_denorm_src 0
		.amdhsa_exception_fp_ieee_div_zero 0
		.amdhsa_exception_fp_ieee_overflow 0
		.amdhsa_exception_fp_ieee_underflow 0
		.amdhsa_exception_fp_ieee_inexact 0
		.amdhsa_exception_int_div_zero 0
	.end_amdhsa_kernel
	.text
.Lfunc_end0:
	.size	bluestein_single_back_len864_dim1_dp_op_CI_CI, .Lfunc_end0-bluestein_single_back_len864_dim1_dp_op_CI_CI
                                        ; -- End function
	.section	.AMDGPU.csdata,"",@progbits
; Kernel info:
; codeLenInByte = 21192
; NumSgprs: 26
; NumVgprs: 256
; ScratchSize: 420
; MemoryBound: 0
; FloatMode: 240
; IeeeMode: 1
; LDSByteSize: 13824 bytes/workgroup (compile time only)
; SGPRBlocks: 3
; VGPRBlocks: 31
; NumSGPRsForWavesPerEU: 26
; NumVGPRsForWavesPerEU: 256
; Occupancy: 5
; WaveLimiterHint : 1
; COMPUTE_PGM_RSRC2:SCRATCH_EN: 1
; COMPUTE_PGM_RSRC2:USER_SGPR: 15
; COMPUTE_PGM_RSRC2:TRAP_HANDLER: 0
; COMPUTE_PGM_RSRC2:TGID_X_EN: 1
; COMPUTE_PGM_RSRC2:TGID_Y_EN: 0
; COMPUTE_PGM_RSRC2:TGID_Z_EN: 0
; COMPUTE_PGM_RSRC2:TIDIG_COMP_CNT: 0
	.text
	.p2alignl 7, 3214868480
	.fill 96, 4, 3214868480
	.type	__hip_cuid_7329ab20a603e8d,@object ; @__hip_cuid_7329ab20a603e8d
	.section	.bss,"aw",@nobits
	.globl	__hip_cuid_7329ab20a603e8d
__hip_cuid_7329ab20a603e8d:
	.byte	0                               ; 0x0
	.size	__hip_cuid_7329ab20a603e8d, 1

	.ident	"AMD clang version 19.0.0git (https://github.com/RadeonOpenCompute/llvm-project roc-6.4.0 25133 c7fe45cf4b819c5991fe208aaa96edf142730f1d)"
	.section	".note.GNU-stack","",@progbits
	.addrsig
	.addrsig_sym __hip_cuid_7329ab20a603e8d
	.amdgpu_metadata
---
amdhsa.kernels:
  - .args:
      - .actual_access:  read_only
        .address_space:  global
        .offset:         0
        .size:           8
        .value_kind:     global_buffer
      - .actual_access:  read_only
        .address_space:  global
        .offset:         8
        .size:           8
        .value_kind:     global_buffer
      - .actual_access:  read_only
        .address_space:  global
        .offset:         16
        .size:           8
        .value_kind:     global_buffer
      - .actual_access:  read_only
        .address_space:  global
        .offset:         24
        .size:           8
        .value_kind:     global_buffer
      - .actual_access:  read_only
        .address_space:  global
        .offset:         32
        .size:           8
        .value_kind:     global_buffer
      - .offset:         40
        .size:           8
        .value_kind:     by_value
      - .address_space:  global
        .offset:         48
        .size:           8
        .value_kind:     global_buffer
      - .address_space:  global
        .offset:         56
        .size:           8
        .value_kind:     global_buffer
      - .address_space:  global
        .offset:         64
        .size:           8
        .value_kind:     global_buffer
      - .address_space:  global
        .offset:         72
        .size:           8
        .value_kind:     global_buffer
      - .offset:         80
        .size:           4
        .value_kind:     by_value
      - .address_space:  global
        .offset:         88
        .size:           8
        .value_kind:     global_buffer
      - .address_space:  global
        .offset:         96
        .size:           8
        .value_kind:     global_buffer
    .group_segment_fixed_size: 13824
    .kernarg_segment_align: 8
    .kernarg_segment_size: 104
    .language:       OpenCL C
    .language_version:
      - 2
      - 0
    .max_flat_workgroup_size: 54
    .name:           bluestein_single_back_len864_dim1_dp_op_CI_CI
    .private_segment_fixed_size: 420
    .sgpr_count:     26
    .sgpr_spill_count: 0
    .symbol:         bluestein_single_back_len864_dim1_dp_op_CI_CI.kd
    .uniform_work_group_size: 1
    .uses_dynamic_stack: false
    .vgpr_count:     256
    .vgpr_spill_count: 104
    .wavefront_size: 32
    .workgroup_processor_mode: 1
amdhsa.target:   amdgcn-amd-amdhsa--gfx1100
amdhsa.version:
  - 1
  - 2
...

	.end_amdgpu_metadata
